;; amdgpu-corpus repo=ROCm/rocFFT kind=compiled arch=gfx906 opt=O3
	.text
	.amdgcn_target "amdgcn-amd-amdhsa--gfx906"
	.amdhsa_code_object_version 6
	.protected	bluestein_single_fwd_len833_dim1_half_op_CI_CI ; -- Begin function bluestein_single_fwd_len833_dim1_half_op_CI_CI
	.globl	bluestein_single_fwd_len833_dim1_half_op_CI_CI
	.p2align	8
	.type	bluestein_single_fwd_len833_dim1_half_op_CI_CI,@function
bluestein_single_fwd_len833_dim1_half_op_CI_CI: ; @bluestein_single_fwd_len833_dim1_half_op_CI_CI
; %bb.0:
	s_load_dwordx4 s[0:3], s[4:5], 0x28
	v_mul_u32_u24_e32 v1, 0x227, v0
	v_add_u32_sdwa v8, s6, v1 dst_sel:DWORD dst_unused:UNUSED_PAD src0_sel:DWORD src1_sel:WORD_1
	v_mov_b32_e32 v9, 0
	s_waitcnt lgkmcnt(0)
	v_cmp_gt_u64_e32 vcc, s[0:1], v[8:9]
	s_and_saveexec_b64 s[0:1], vcc
	s_cbranch_execz .LBB0_15
; %bb.1:
	s_load_dwordx2 s[6:7], s[4:5], 0x0
	s_load_dwordx2 s[12:13], s[4:5], 0x38
	s_movk_i32 s0, 0x77
	v_mul_lo_u16_sdwa v1, v1, s0 dst_sel:DWORD dst_unused:UNUSED_PAD src0_sel:WORD_1 src1_sel:DWORD
	v_sub_u16_e32 v30, v0, v1
	v_cmp_gt_u16_e32 vcc, 49, v30
	v_lshlrev_b32_e32 v29, 2, v30
	s_and_saveexec_b64 s[8:9], vcc
	s_cbranch_execz .LBB0_3
; %bb.2:
	s_load_dwordx2 s[0:1], s[4:5], 0x18
	s_waitcnt lgkmcnt(0)
	s_load_dwordx4 s[16:19], s[0:1], 0x0
	s_waitcnt lgkmcnt(0)
	v_mad_u64_u32 v[0:1], s[0:1], s18, v8, 0
	v_mad_u64_u32 v[2:3], s[0:1], s16, v30, 0
	;; [unrolled: 1-line block ×4, first 2 shown]
	v_mov_b32_e32 v1, v4
	v_lshlrev_b64 v[0:1], 2, v[0:1]
	v_mov_b32_e32 v3, v5
	v_mov_b32_e32 v6, s3
	v_lshlrev_b64 v[2:3], 2, v[2:3]
	v_add_co_u32_e64 v0, s[0:1], s2, v0
	v_addc_co_u32_e64 v1, s[0:1], v6, v1, s[0:1]
	v_add_co_u32_e64 v0, s[0:1], v0, v2
	v_addc_co_u32_e64 v1, s[0:1], v1, v3, s[0:1]
	s_mul_i32 s0, s17, 0xc4
	s_mul_hi_u32 s2, s16, 0xc4
	s_add_i32 s2, s2, s0
	s_mul_i32 s3, s16, 0xc4
	v_mov_b32_e32 v3, s2
	v_add_co_u32_e64 v2, s[0:1], s3, v0
	v_addc_co_u32_e64 v3, s[0:1], v1, v3, s[0:1]
	global_load_dword v4, v[0:1], off
	global_load_dword v5, v[2:3], off
	global_load_dword v6, v29, s[6:7]
	global_load_dword v7, v29, s[6:7] offset:196
	v_mov_b32_e32 v1, s2
	v_add_co_u32_e64 v0, s[0:1], s3, v2
	v_addc_co_u32_e64 v1, s[0:1], v3, v1, s[0:1]
	global_load_dword v2, v[0:1], off
	global_load_dword v3, v29, s[6:7] offset:392
	v_mov_b32_e32 v9, s2
	v_add_co_u32_e64 v0, s[0:1], s3, v0
	v_addc_co_u32_e64 v1, s[0:1], v1, v9, s[0:1]
	global_load_dword v9, v[0:1], off
	global_load_dword v10, v29, s[6:7] offset:588
	v_mov_b32_e32 v11, s2
	v_add_co_u32_e64 v0, s[0:1], s3, v0
	v_addc_co_u32_e64 v1, s[0:1], v1, v11, s[0:1]
	global_load_dword v11, v[0:1], off
	global_load_dword v12, v29, s[6:7] offset:784
	v_mov_b32_e32 v13, s2
	v_add_co_u32_e64 v0, s[0:1], s3, v0
	v_addc_co_u32_e64 v1, s[0:1], v1, v13, s[0:1]
	global_load_dword v13, v[0:1], off
	global_load_dword v14, v29, s[6:7] offset:980
	global_load_dword v15, v29, s[6:7] offset:1176
	;; [unrolled: 1-line block ×3, first 2 shown]
	v_mov_b32_e32 v17, s2
	v_add_co_u32_e64 v0, s[0:1], s3, v0
	v_addc_co_u32_e64 v1, s[0:1], v1, v17, s[0:1]
	global_load_dword v17, v[0:1], off
	v_mov_b32_e32 v18, s2
	v_add_co_u32_e64 v0, s[0:1], s3, v0
	v_addc_co_u32_e64 v1, s[0:1], v1, v18, s[0:1]
	global_load_dword v18, v[0:1], off
	v_mov_b32_e32 v19, s2
	v_add_co_u32_e64 v0, s[0:1], s3, v0
	v_addc_co_u32_e64 v1, s[0:1], v1, v19, s[0:1]
	global_load_dword v19, v29, s[6:7] offset:1568
	v_mov_b32_e32 v25, s2
	v_mov_b32_e32 v26, s2
	;; [unrolled: 1-line block ×5, first 2 shown]
	s_waitcnt vmcnt(16)
	v_lshrrev_b32_e32 v20, 16, v4
	s_waitcnt vmcnt(14)
	v_mul_f16_sdwa v21, v6, v4 dst_sel:DWORD dst_unused:UNUSED_PAD src0_sel:WORD_1 src1_sel:DWORD
	v_mul_f16_sdwa v22, v6, v20 dst_sel:DWORD dst_unused:UNUSED_PAD src0_sel:WORD_1 src1_sel:DWORD
	v_fma_f16 v20, v6, v20, -v21
	v_lshrrev_b32_e32 v21, 16, v5
	s_waitcnt vmcnt(13)
	v_mul_f16_sdwa v23, v7, v5 dst_sel:DWORD dst_unused:UNUSED_PAD src0_sel:WORD_1 src1_sel:DWORD
	v_fma_f16 v4, v6, v4, v22
	v_mul_f16_sdwa v6, v7, v21 dst_sel:DWORD dst_unused:UNUSED_PAD src0_sel:WORD_1 src1_sel:DWORD
	s_waitcnt vmcnt(12)
	v_lshrrev_b32_e32 v22, 16, v2
	v_fma_f16 v21, v7, v21, -v23
	s_waitcnt vmcnt(11)
	v_mul_f16_sdwa v23, v3, v2 dst_sel:DWORD dst_unused:UNUSED_PAD src0_sel:WORD_1 src1_sel:DWORD
	v_pack_b32_f16 v4, v4, v20
	v_fma_f16 v5, v7, v5, v6
	v_mul_f16_sdwa v6, v3, v22 dst_sel:DWORD dst_unused:UNUSED_PAD src0_sel:WORD_1 src1_sel:DWORD
	s_waitcnt vmcnt(10)
	v_lshrrev_b32_e32 v20, 16, v9
	v_fma_f16 v7, v3, v22, -v23
	v_fma_f16 v2, v3, v2, v6
	s_waitcnt vmcnt(9)
	v_mul_f16_sdwa v3, v10, v20 dst_sel:DWORD dst_unused:UNUSED_PAD src0_sel:WORD_1 src1_sel:DWORD
	v_mul_f16_sdwa v22, v10, v9 dst_sel:DWORD dst_unused:UNUSED_PAD src0_sel:WORD_1 src1_sel:DWORD
	v_fma_f16 v3, v10, v9, v3
	global_load_dword v9, v[0:1], off
	v_pack_b32_f16 v5, v5, v21
	v_fma_f16 v6, v10, v20, -v22
	v_mov_b32_e32 v10, s2
	v_add_co_u32_e64 v0, s[0:1], s3, v0
	s_waitcnt vmcnt(9)
	v_lshrrev_b32_e32 v20, 16, v11
	s_waitcnt vmcnt(8)
	v_mul_f16_sdwa v21, v12, v11 dst_sel:DWORD dst_unused:UNUSED_PAD src0_sel:WORD_1 src1_sel:DWORD
	ds_write2_b32 v29, v4, v5 offset1:49
	v_addc_co_u32_e64 v1, s[0:1], v1, v10, s[0:1]
	v_mul_f16_sdwa v4, v12, v20 dst_sel:DWORD dst_unused:UNUSED_PAD src0_sel:WORD_1 src1_sel:DWORD
	v_fma_f16 v5, v12, v20, -v21
	global_load_dword v10, v[0:1], off
	global_load_dword v20, v29, s[6:7] offset:1764
	v_mov_b32_e32 v21, s2
	v_add_co_u32_e64 v0, s[0:1], s3, v0
	v_addc_co_u32_e64 v1, s[0:1], v1, v21, s[0:1]
	global_load_dword v21, v[0:1], off
	global_load_dword v23, v29, s[6:7] offset:1960
	v_mov_b32_e32 v22, s2
	v_add_co_u32_e64 v0, s[0:1], s3, v0
	v_addc_co_u32_e64 v1, s[0:1], v1, v22, s[0:1]
	global_load_dword v22, v[0:1], off
	global_load_dword v24, v29, s[6:7] offset:2156
	v_add_co_u32_e64 v0, s[0:1], s3, v0
	v_addc_co_u32_e64 v1, s[0:1], v1, v25, s[0:1]
	global_load_dword v25, v[0:1], off
	global_load_dword v27, v29, s[6:7] offset:2352
	;; [unrolled: 4-line block ×6, first 2 shown]
	v_pack_b32_f16 v2, v2, v7
	s_waitcnt vmcnt(23)
	v_lshrrev_b32_e32 v7, 16, v13
	s_waitcnt vmcnt(22)
	v_mul_f16_sdwa v0, v14, v13 dst_sel:DWORD dst_unused:UNUSED_PAD src0_sel:WORD_1 src1_sel:DWORD
	v_pack_b32_f16 v1, v3, v6
	v_fma_f16 v3, v12, v11, v4
	v_mul_f16_sdwa v4, v14, v7 dst_sel:DWORD dst_unused:UNUSED_PAD src0_sel:WORD_1 src1_sel:DWORD
	v_fma_f16 v0, v14, v7, -v0
	ds_write2_b32 v29, v2, v1 offset0:98 offset1:147
	v_fma_f16 v2, v14, v13, v4
	v_pack_b32_f16 v1, v3, v5
	v_pack_b32_f16 v0, v2, v0
	ds_write2_b32 v29, v1, v0 offset0:196 offset1:245
	s_waitcnt vmcnt(19)
	v_lshrrev_b32_e32 v0, 16, v17
	v_mul_f16_sdwa v1, v15, v0 dst_sel:DWORD dst_unused:UNUSED_PAD src0_sel:WORD_1 src1_sel:DWORD
	v_mul_f16_sdwa v2, v15, v17 dst_sel:DWORD dst_unused:UNUSED_PAD src0_sel:WORD_1 src1_sel:DWORD
	v_fma_f16 v1, v15, v17, v1
	v_fma_f16 v0, v15, v0, -v2
	v_pack_b32_f16 v0, v1, v0
	s_waitcnt vmcnt(18)
	v_lshrrev_b32_e32 v1, 16, v18
	v_mul_f16_sdwa v2, v16, v1 dst_sel:DWORD dst_unused:UNUSED_PAD src0_sel:WORD_1 src1_sel:DWORD
	v_mul_f16_sdwa v3, v16, v18 dst_sel:DWORD dst_unused:UNUSED_PAD src0_sel:WORD_1 src1_sel:DWORD
	v_fma_f16 v2, v16, v18, v2
	v_fma_f16 v1, v16, v1, -v3
	v_pack_b32_f16 v1, v2, v1
	v_add_u32_e32 v2, 0x400, v29
	ds_write2_b32 v2, v0, v1 offset0:38 offset1:87
	s_waitcnt vmcnt(16)
	v_lshrrev_b32_e32 v0, 16, v9
	v_mul_f16_sdwa v1, v19, v0 dst_sel:DWORD dst_unused:UNUSED_PAD src0_sel:WORD_1 src1_sel:DWORD
	v_mul_f16_sdwa v3, v19, v9 dst_sel:DWORD dst_unused:UNUSED_PAD src0_sel:WORD_1 src1_sel:DWORD
	v_fma_f16 v1, v19, v9, v1
	v_fma_f16 v0, v19, v0, -v3
	v_pack_b32_f16 v0, v1, v0
	s_waitcnt vmcnt(15)
	v_lshrrev_b32_e32 v1, 16, v10
	s_waitcnt vmcnt(14)
	v_mul_f16_sdwa v3, v20, v1 dst_sel:DWORD dst_unused:UNUSED_PAD src0_sel:WORD_1 src1_sel:DWORD
	v_mul_f16_sdwa v4, v20, v10 dst_sel:DWORD dst_unused:UNUSED_PAD src0_sel:WORD_1 src1_sel:DWORD
	v_fma_f16 v3, v20, v10, v3
	v_fma_f16 v1, v20, v1, -v4
	v_pack_b32_f16 v1, v3, v1
	ds_write2_b32 v2, v0, v1 offset0:136 offset1:185
	s_waitcnt vmcnt(13)
	v_lshrrev_b32_e32 v0, 16, v21
	s_waitcnt vmcnt(12)
	v_mul_f16_sdwa v1, v23, v0 dst_sel:DWORD dst_unused:UNUSED_PAD src0_sel:WORD_1 src1_sel:DWORD
	v_mul_f16_sdwa v2, v23, v21 dst_sel:DWORD dst_unused:UNUSED_PAD src0_sel:WORD_1 src1_sel:DWORD
	v_fma_f16 v1, v23, v21, v1
	v_fma_f16 v0, v23, v0, -v2
	v_pack_b32_f16 v0, v1, v0
	s_waitcnt vmcnt(11)
	v_lshrrev_b32_e32 v1, 16, v22
	s_waitcnt vmcnt(10)
	v_mul_f16_sdwa v2, v24, v1 dst_sel:DWORD dst_unused:UNUSED_PAD src0_sel:WORD_1 src1_sel:DWORD
	v_mul_f16_sdwa v3, v24, v22 dst_sel:DWORD dst_unused:UNUSED_PAD src0_sel:WORD_1 src1_sel:DWORD
	v_fma_f16 v2, v24, v22, v2
	v_fma_f16 v1, v24, v1, -v3
	v_pack_b32_f16 v1, v2, v1
	v_add_u32_e32 v2, 0x600, v29
	ds_write2_b32 v2, v0, v1 offset0:106 offset1:155
	s_waitcnt vmcnt(9)
	v_lshrrev_b32_e32 v0, 16, v25
	s_waitcnt vmcnt(8)
	v_mul_f16_sdwa v1, v27, v0 dst_sel:DWORD dst_unused:UNUSED_PAD src0_sel:WORD_1 src1_sel:DWORD
	v_mul_f16_sdwa v2, v27, v25 dst_sel:DWORD dst_unused:UNUSED_PAD src0_sel:WORD_1 src1_sel:DWORD
	v_fma_f16 v1, v27, v25, v1
	v_fma_f16 v0, v27, v0, -v2
	v_pack_b32_f16 v0, v1, v0
	s_waitcnt vmcnt(7)
	v_lshrrev_b32_e32 v1, 16, v26
	s_waitcnt vmcnt(6)
	v_mul_f16_sdwa v2, v28, v1 dst_sel:DWORD dst_unused:UNUSED_PAD src0_sel:WORD_1 src1_sel:DWORD
	v_mul_f16_sdwa v3, v28, v26 dst_sel:DWORD dst_unused:UNUSED_PAD src0_sel:WORD_1 src1_sel:DWORD
	v_fma_f16 v2, v28, v26, v2
	v_fma_f16 v1, v28, v1, -v3
	v_pack_b32_f16 v1, v2, v1
	v_add_u32_e32 v2, 0x800, v29
	ds_write2_b32 v2, v0, v1 offset0:76 offset1:125
	s_waitcnt vmcnt(5)
	v_lshrrev_b32_e32 v0, 16, v31
	s_waitcnt vmcnt(4)
	v_mul_f16_sdwa v1, v33, v0 dst_sel:DWORD dst_unused:UNUSED_PAD src0_sel:WORD_1 src1_sel:DWORD
	v_mul_f16_sdwa v3, v33, v31 dst_sel:DWORD dst_unused:UNUSED_PAD src0_sel:WORD_1 src1_sel:DWORD
	v_fma_f16 v1, v33, v31, v1
	v_fma_f16 v0, v33, v0, -v3
	v_pack_b32_f16 v0, v1, v0
	s_waitcnt vmcnt(3)
	v_lshrrev_b32_e32 v1, 16, v32
	s_waitcnt vmcnt(2)
	v_mul_f16_sdwa v3, v34, v1 dst_sel:DWORD dst_unused:UNUSED_PAD src0_sel:WORD_1 src1_sel:DWORD
	v_mul_f16_sdwa v4, v34, v32 dst_sel:DWORD dst_unused:UNUSED_PAD src0_sel:WORD_1 src1_sel:DWORD
	v_fma_f16 v3, v34, v32, v3
	v_fma_f16 v1, v34, v1, -v4
	v_pack_b32_f16 v1, v3, v1
	ds_write2_b32 v2, v0, v1 offset0:174 offset1:223
	s_waitcnt vmcnt(1)
	v_lshrrev_b32_e32 v0, 16, v35
	s_waitcnt vmcnt(0)
	v_mul_f16_sdwa v1, v36, v0 dst_sel:DWORD dst_unused:UNUSED_PAD src0_sel:WORD_1 src1_sel:DWORD
	v_mul_f16_sdwa v2, v36, v35 dst_sel:DWORD dst_unused:UNUSED_PAD src0_sel:WORD_1 src1_sel:DWORD
	v_fma_f16 v1, v36, v35, v1
	v_fma_f16 v0, v36, v0, -v2
	v_pack_b32_f16 v0, v1, v0
	ds_write_b32 v29, v0 offset:3136
.LBB0_3:
	s_or_b64 exec, exec, s[8:9]
	s_load_dwordx2 s[2:3], s[4:5], 0x20
	s_load_dwordx2 s[0:1], s[4:5], 0x8
	s_waitcnt lgkmcnt(0)
	s_barrier
	s_waitcnt lgkmcnt(0)
                                        ; implicit-def: $vgpr0
                                        ; implicit-def: $vgpr3
                                        ; implicit-def: $vgpr17
                                        ; implicit-def: $vgpr6
                                        ; implicit-def: $vgpr43
                                        ; implicit-def: $vgpr51
                                        ; implicit-def: $vgpr23
                                        ; implicit-def: $vgpr52
                                        ; implicit-def: $vgpr53
                                        ; implicit-def: $vgpr25
                                        ; implicit-def: $vgpr54
                                        ; implicit-def: $vgpr55
                                        ; implicit-def: $vgpr48
                                        ; implicit-def: $vgpr56
                                        ; implicit-def: $vgpr50
                                        ; implicit-def: $vgpr5
                                        ; implicit-def: $vgpr44
                                        ; implicit-def: $vgpr46
                                        ; implicit-def: $vgpr27
                                        ; implicit-def: $vgpr28
                                        ; implicit-def: $vgpr45
                                        ; implicit-def: $vgpr47
                                        ; implicit-def: $vgpr49
                                        ; implicit-def: $vgpr22
                                        ; implicit-def: $vgpr20
	s_and_saveexec_b64 s[4:5], vcc
	s_cbranch_execz .LBB0_5
; %bb.4:
	v_add_u32_e32 v2, 0x400, v29
	v_add_u32_e32 v6, 0x600, v29
	;; [unrolled: 1-line block ×3, first 2 shown]
	ds_read2_b32 v[0:1], v29 offset1:49
	ds_read2_b32 v[19:20], v29 offset0:98 offset1:147
	ds_read2_b32 v[21:22], v29 offset0:196 offset1:245
	;; [unrolled: 1-line block ×7, first 2 shown]
	ds_read_b32 v48, v29 offset:3136
	s_waitcnt lgkmcnt(8)
	v_lshrrev_b32_e32 v49, 16, v1
	s_waitcnt lgkmcnt(7)
	v_lshrrev_b32_e32 v47, 16, v19
	v_lshrrev_b32_e32 v45, 16, v20
	s_waitcnt lgkmcnt(6)
	v_lshrrev_b32_e32 v28, 16, v21
	;; [unrolled: 3-line block ×8, first 2 shown]
.LBB0_5:
	s_or_b64 exec, exec, s[4:5]
	v_sub_f16_e32 v18, v49, v56
	s_movk_i32 s4, 0x39e9
	v_add_f16_e32 v65, v48, v1
	v_mul_f16_e32 v57, 0xb964, v18
	v_sub_f16_e32 v32, v47, v55
	v_fma_f16 v9, v65, s4, v57
	s_movk_i32 s5, 0x2de8
	v_add_f16_e32 v67, v26, v19
	v_mul_f16_e32 v58, 0xbbf7, v32
	v_add_f16_e32 v9, v9, v0
	v_fma_f16 v10, v67, s5, v58
	s_movk_i32 s8, 0x3722
	v_mul_f16_e32 v59, 0xbb29, v18
	v_add_f16_e32 v9, v10, v9
	v_fma_f16 v10, v65, s8, v59
	s_mov_b32 s9, 0xb8d2
	v_mul_f16_e32 v60, 0xba62, v32
	v_sub_f16_e32 v31, v45, v54
	v_add_f16_e32 v10, v10, v0
	v_fma_f16 v11, v67, s9, v60
	v_add_f16_e32 v70, v25, v20
	v_mul_f16_e32 v61, 0xba62, v31
	v_add_f16_e32 v10, v11, v10
	v_fma_f16 v11, v70, s9, v61
	s_mov_b32 s10, 0xbbdd
	v_mul_f16_e32 v62, 0x31e1, v31
	v_sub_f16_e32 v33, v28, v53
	v_add_f16_e32 v9, v11, v9
	v_fma_f16 v11, v70, s10, v62
	v_add_f16_e32 v73, v24, v21
	v_mul_f16_e32 v63, 0xb1e1, v33
	v_add_f16_e32 v10, v11, v10
	v_fma_f16 v11, v73, s10, v63
	s_mov_b32 s11, 0xb461
	v_mul_f16_e32 v64, 0x3bb2, v33
	v_sub_f16_e32 v34, v27, v52
	v_add_f16_e32 v9, v11, v9
	v_fma_f16 v11, v73, s11, v64
	s_mov_b32 s14, 0xbacd
	v_add_f16_e32 v76, v23, v22
	v_mul_f16_e32 v66, 0x3836, v34
	v_add_f16_e32 v10, v11, v10
	v_fma_f16 v11, v76, s14, v66
	v_mul_f16_e32 v68, 0x3964, v34
	v_sub_f16_e32 v35, v46, v51
	v_add_f16_e32 v9, v11, v9
	v_fma_f16 v11, v76, s4, v68
	v_add_f16_e32 v78, v7, v4
	v_mul_f16_e32 v69, 0x3bb2, v35
	v_add_f16_e32 v10, v11, v10
	v_fma_f16 v11, v78, s11, v69
	s_movk_i32 s15, 0x3b76
	v_mul_f16_e32 v71, 0xb5c8, v35
	v_sub_f16_e32 v36, v44, v43
	v_add_f16_e32 v9, v11, v9
	v_fma_f16 v11, v78, s15, v71
	v_add_f16_e32 v83, v6, v5
	v_mul_f16_e32 v72, 0x3b29, v36
	v_add_f16_e32 v10, v11, v10
	v_fma_f16 v11, v83, s8, v72
	v_mul_f16_e32 v74, 0xbbf7, v36
	v_sub_f16_e32 v37, v50, v17
	v_add_f16_e32 v9, v11, v9
	v_fma_f16 v11, v83, s5, v74
	v_add_f16_e32 v97, v3, v2
	v_mul_f16_e32 v75, 0x35c8, v37
	v_add_f16_e32 v11, v11, v10
	v_fma_f16 v10, v97, s15, v75
	v_mul_f16_e32 v77, 0xb836, v37
	v_add_f16_e32 v10, v10, v9
	v_fma_f16 v9, v97, s14, v77
	;; [unrolled: 3-line block ×34, first 2 shown]
	v_add_f16_e32 v13, v13, v15
	v_mul_f16_e32 v15, 0xb1e1, v18
	v_fma_f16 v16, v65, s10, -v15
	v_mul_f16_e32 v95, 0x35c8, v32
	v_fma_f16 v15, v65, s10, v15
	v_fma_f16 v96, v67, s15, -v95
	v_add_f16_e32 v15, v15, v0
	v_fma_f16 v95, v67, s15, v95
	v_add_f16_e32 v16, v16, v0
	v_add_f16_e32 v15, v95, v15
	v_mul_f16_e32 v95, 0xb836, v31
	v_add_f16_e32 v16, v96, v16
	v_fma_f16 v96, v70, s14, -v95
	v_fma_f16 v95, v70, s14, v95
	v_add_f16_e32 v15, v95, v15
	v_mul_f16_e32 v95, 0x3964, v33
	v_add_f16_e32 v16, v96, v16
	v_fma_f16 v96, v73, s4, -v95
	v_fma_f16 v95, v73, s4, v95
	;; [unrolled: 5-line block ×4, first 2 shown]
	v_add_f16_e32 v15, v95, v15
	v_mul_f16_e32 v95, 0xbbb2, v36
	v_add_f16_e32 v16, v96, v16
	v_fma_f16 v96, v83, s11, -v95
	v_add_f16_e32 v16, v96, v16
	v_fma_f16 v95, v83, s11, v95
	v_mul_f16_e32 v96, 0x3bf7, v37
	v_add_f16_e32 v95, v95, v15
	v_fma_f16 v15, v97, s5, -v96
	v_add_f16_e32 v15, v15, v16
	v_fma_f16 v16, v97, s5, v96
	v_add_f16_e32 v16, v16, v95
	v_mul_f16_e32 v95, 0xb5c8, v18
	v_fma_f16 v18, v65, s15, v95
	v_mul_f16_e32 v96, 0xb964, v32
	v_add_f16_e32 v18, v18, v0
	v_fma_f16 v32, v67, s4, v96
	v_add_f16_e32 v18, v32, v18
	v_sub_f16_e32 v32, v1, v48
	v_add_f16_e32 v147, v56, v49
	v_mul_f16_e32 v99, 0xb5c8, v32
	v_fma_f16 v100, v147, s15, -v99
	v_sub_f16_e32 v106, v19, v26
	v_add_f16_sdwa v103, v100, v0 dst_sel:DWORD dst_unused:UNUSED_PAD src0_sel:DWORD src1_sel:WORD_1
	v_add_f16_e32 v145, v55, v47
	v_mul_f16_e32 v100, 0xb964, v106
	v_fma_f16 v104, v145, s4, -v100
	v_add_f16_e32 v113, v104, v103
	v_mul_f16_e32 v103, 0xb964, v32
	v_fma_f16 v104, v147, s4, -v103
	v_add_f16_sdwa v111, v104, v0 dst_sel:DWORD dst_unused:UNUSED_PAD src0_sel:DWORD src1_sel:WORD_1
	v_mul_f16_e32 v104, 0xbbf7, v106
	v_fma_f16 v114, v145, s5, -v104
	v_add_f16_e32 v116, v114, v111
	v_mul_f16_e32 v114, 0xbb29, v32
	v_fma_f16 v111, v147, s8, -v114
	v_mul_f16_e32 v115, 0xba62, v106
	v_add_f16_sdwa v111, v111, v0 dst_sel:DWORD dst_unused:UNUSED_PAD src0_sel:DWORD src1_sel:WORD_1
	v_fma_f16 v117, v145, s9, -v115
	v_mul_f16_e32 v119, 0xbbf7, v32
	v_add_f16_e32 v118, v117, v111
	v_fma_f16 v111, v147, s5, -v119
	v_mul_f16_e32 v120, 0xb1e1, v106
	v_add_f16_sdwa v111, v111, v0 dst_sel:DWORD dst_unused:UNUSED_PAD src0_sel:DWORD src1_sel:WORD_1
	v_fma_f16 v117, v145, s10, -v120
	v_mul_f16_e32 v125, 0xbbb2, v32
	v_add_f16_e32 v121, v117, v111
	v_fma_f16 v111, v147, s11, -v125
	v_mul_f16_e32 v126, 0x3836, v106
	v_add_f16_sdwa v111, v111, v0 dst_sel:DWORD dst_unused:UNUSED_PAD src0_sel:DWORD src1_sel:WORD_1
	v_fma_f16 v117, v145, s14, -v126
	v_mul_f16_e32 v132, 0xba62, v32
	v_fma_f16 v38, v65, s14, -v38
	v_add_f16_e32 v122, v117, v111
	v_fma_f16 v111, v147, s9, -v132
	v_mul_f16_e32 v133, 0x3bb2, v106
	v_add_f16_e32 v38, v38, v0
	v_fma_f16 v39, v67, s8, -v39
	v_add_f16_sdwa v111, v111, v0 dst_sel:DWORD dst_unused:UNUSED_PAD src0_sel:DWORD src1_sel:WORD_1
	v_fma_f16 v117, v145, s11, -v133
	v_add_f16_e32 v38, v39, v38
	v_mul_f16_e32 v39, 0xb836, v32
	v_add_f16_e32 v124, v117, v111
	v_fma_f16 v111, v147, s14, v39
	v_mul_f16_e32 v117, 0x3b29, v106
	v_add_f16_sdwa v111, v111, v0 dst_sel:DWORD dst_unused:UNUSED_PAD src0_sel:DWORD src1_sel:WORD_1
	v_fma_f16 v123, v145, s8, v117
	v_fma_f16 v39, v147, s14, -v39
	v_add_f16_e32 v127, v123, v111
	v_add_f16_sdwa v39, v39, v0 dst_sel:DWORD dst_unused:UNUSED_PAD src0_sel:DWORD src1_sel:WORD_1
	v_fma_f16 v111, v145, s8, -v117
	v_mul_f16_e32 v32, 0xb1e1, v32
	v_add_f16_e32 v39, v111, v39
	v_fma_f16 v111, v147, s10, v32
	v_mul_f16_e32 v106, 0x35c8, v106
	v_fma_f16 v32, v147, s10, -v32
	v_fma_f16 v117, v145, s15, v106
	v_add_f16_sdwa v32, v32, v0 dst_sel:DWORD dst_unused:UNUSED_PAD src0_sel:DWORD src1_sel:WORD_1
	v_fma_f16 v106, v145, s15, -v106
	v_add_f16_e32 v32, v106, v32
	v_mul_f16_e32 v106, 0xbb29, v31
	v_fma_f16 v31, v70, s8, v106
	v_add_f16_sdwa v111, v111, v0 dst_sel:DWORD dst_unused:UNUSED_PAD src0_sel:DWORD src1_sel:WORD_1
	v_add_f16_e32 v18, v31, v18
	v_sub_f16_e32 v31, v20, v25
	v_add_f16_e32 v128, v117, v111
	v_add_f16_e32 v153, v54, v45
	v_mul_f16_e32 v111, 0xbb29, v31
	v_fma_f16 v117, v153, s8, -v111
	v_add_f16_e32 v129, v117, v113
	v_mul_f16_e32 v117, 0xba62, v31
	v_fma_f16 v113, v153, s9, -v117
	v_mul_f16_e32 v123, 0x31e1, v31
	v_add_f16_e32 v134, v113, v116
	v_fma_f16 v113, v153, s10, -v123
	v_mul_f16_e32 v130, 0x3bb2, v31
	v_add_f16_e32 v118, v113, v118
	;; [unrolled: 3-line block ×3, first 2 shown]
	v_fma_f16 v113, v153, s4, -v138
	v_mul_f16_e32 v146, 0xb5c8, v31
	v_fma_f16 v40, v70, s5, -v40
	v_add_f16_e32 v135, v113, v122
	v_fma_f16 v113, v153, s15, -v146
	v_add_f16_e32 v38, v40, v38
	v_mul_f16_e32 v40, 0xbbf7, v31
	v_add_f16_e32 v124, v113, v124
	v_fma_f16 v113, v153, s5, v40
	v_fma_f16 v40, v153, s5, -v40
	v_mul_f16_e32 v31, 0xb836, v31
	v_add_f16_e32 v127, v113, v127
	v_add_f16_e32 v39, v40, v39
	v_fma_f16 v40, v153, s14, v31
	v_fma_f16 v31, v153, s14, -v31
	v_mul_f16_e32 v113, 0xbbf7, v33
	v_add_f16_e32 v31, v31, v32
	v_fma_f16 v32, v73, s5, v113
	v_add_f16_e32 v18, v32, v18
	v_sub_f16_e32 v32, v21, v24
	v_add_f16_e32 v158, v53, v28
	v_mul_f16_e32 v116, 0xbbf7, v32
	v_fma_f16 v33, v158, s5, -v116
	v_mul_f16_e32 v122, 0xb1e1, v32
	v_add_f16_e32 v40, v40, v128
	v_add_f16_e32 v33, v33, v129
	v_fma_f16 v128, v158, s10, -v122
	v_mul_f16_e32 v129, 0x3bb2, v32
	v_add_f16_e32 v134, v128, v134
	v_fma_f16 v128, v158, s11, -v129
	v_mul_f16_e32 v137, 0x35c8, v32
	;; [unrolled: 3-line block ×4, first 2 shown]
	v_fma_f16 v41, v73, s9, -v41
	v_add_f16_e32 v135, v118, v135
	v_fma_f16 v118, v158, s14, -v152
	v_add_f16_e32 v38, v41, v38
	v_mul_f16_e32 v41, 0x3a62, v32
	v_add_f16_e32 v124, v118, v124
	v_fma_f16 v118, v158, s9, v41
	v_fma_f16 v41, v158, s9, -v41
	v_mul_f16_e32 v32, 0x3964, v32
	v_add_f16_e32 v127, v118, v127
	v_add_f16_e32 v39, v41, v39
	v_fma_f16 v41, v158, s4, v32
	v_fma_f16 v32, v158, s4, -v32
	v_mul_f16_e32 v118, 0xbbb2, v34
	v_add_f16_e32 v31, v32, v31
	v_fma_f16 v32, v76, s11, v118
	v_add_f16_e32 v18, v32, v18
	v_sub_f16_e32 v32, v22, v23
	v_add_f16_e32 v159, v52, v27
	v_mul_f16_e32 v121, 0xbbb2, v32
	v_mul_f16_e32 v136, 0x3964, v32
	v_add_f16_e32 v40, v41, v40
	v_fma_f16 v34, v159, s11, -v121
	v_mul_f16_e32 v128, 0x3836, v32
	v_fma_f16 v41, v159, s4, -v136
	v_mul_f16_e32 v151, 0xb1e1, v32
	v_add_f16_e32 v33, v34, v33
	v_fma_f16 v34, v159, s14, -v128
	v_add_f16_e32 v41, v41, v140
	v_mul_f16_e32 v143, 0xbb29, v32
	v_fma_f16 v140, v159, s10, -v151
	v_mul_f16_e32 v157, 0x3bf7, v32
	v_fma_f16 v42, v76, s15, -v42
	v_add_f16_e32 v34, v34, v134
	v_fma_f16 v134, v159, s8, -v143
	v_add_f16_e32 v140, v140, v135
	;; [unrolled: 2-line block ×3, first 2 shown]
	v_mul_f16_e32 v42, 0xb5c8, v32
	v_add_f16_e32 v134, v134, v141
	v_add_f16_e32 v141, v135, v124
	v_fma_f16 v124, v159, s15, v42
	v_fma_f16 v42, v159, s15, -v42
	v_mul_f16_e32 v32, 0xba62, v32
	v_add_f16_e32 v148, v124, v127
	v_add_f16_e32 v39, v42, v39
	v_fma_f16 v42, v159, s9, v32
	v_fma_f16 v32, v159, s9, -v32
	v_mul_f16_e32 v124, 0xba62, v35
	v_add_f16_e32 v31, v32, v31
	v_fma_f16 v32, v78, s9, v124
	v_add_f16_e32 v18, v32, v18
	v_sub_f16_e32 v32, v4, v7
	v_add_f16_e32 v163, v51, v46
	v_mul_f16_e32 v127, 0xba62, v32
	v_fma_f16 v35, v163, s9, -v127
	v_mul_f16_e32 v135, 0x3bb2, v32
	v_add_f16_e32 v33, v35, v33
	v_fma_f16 v35, v163, s11, -v135
	v_mul_f16_e32 v142, 0xb5c8, v32
	v_add_f16_e32 v34, v35, v34
	;; [unrolled: 3-line block ×3, first 2 shown]
	v_fma_f16 v41, v163, s14, -v150
	v_mul_f16_e32 v156, 0x3bf7, v32
	v_mul_f16_e32 v162, 0xb964, v32
	v_fma_f16 v131, v78, s10, -v131
	v_add_f16_e32 v40, v42, v40
	v_add_f16_e32 v41, v41, v134
	v_fma_f16 v42, v163, s5, -v156
	v_fma_f16 v134, v163, s4, -v162
	v_add_f16_e32 v38, v131, v38
	v_mul_f16_e32 v131, 0xb1e1, v32
	v_add_f16_e32 v42, v42, v140
	v_add_f16_e32 v140, v134, v141
	v_fma_f16 v134, v163, s10, v131
	v_fma_f16 v131, v163, s10, -v131
	v_mul_f16_e32 v32, 0x3b29, v32
	v_add_f16_e32 v39, v131, v39
	v_fma_f16 v131, v163, s8, v32
	v_add_f16_e32 v40, v131, v40
	v_fma_f16 v32, v163, s8, -v32
	v_mul_f16_e32 v131, 0xb836, v36
	v_add_f16_e32 v31, v32, v31
	v_fma_f16 v32, v83, s14, v131
	v_add_f16_e32 v18, v32, v18
	v_sub_f16_e32 v32, v5, v6
	v_add_f16_e32 v148, v134, v148
	v_add_f16_e32 v166, v43, v44
	v_mul_f16_e32 v134, 0xb836, v32
	v_fma_f16 v36, v166, s14, -v134
	v_mul_f16_e32 v141, 0x3b29, v32
	v_add_f16_e32 v33, v36, v33
	v_fma_f16 v36, v166, s8, -v141
	v_mul_f16_e32 v149, 0xbbf7, v32
	v_add_f16_e32 v36, v36, v34
	;; [unrolled: 3-line block ×5, first 2 shown]
	v_fma_f16 v34, v166, s10, -v165
	v_add_f16_e32 v170, v34, v140
	v_fma_f16 v34, v83, s4, -v139
	v_add_f16_e32 v171, v34, v38
	v_mul_f16_e32 v34, 0x3964, v32
	v_fma_f16 v38, v166, s4, v34
	v_fma_f16 v34, v166, s4, -v34
	v_mul_f16_e32 v32, 0xbbb2, v32
	v_add_f16_e32 v172, v34, v39
	v_fma_f16 v34, v166, s11, v32
	v_fma_f16 v32, v166, s11, -v32
	v_mul_f16_e32 v139, 0xb1e1, v37
	v_add_f16_e32 v31, v32, v31
	v_fma_f16 v32, v97, s10, v139
	v_add_f16_e32 v32, v32, v18
	v_sub_f16_e32 v18, v2, v3
	v_add_f16_e32 v167, v17, v50
	v_mul_f16_e32 v140, 0xb1e1, v18
	v_add_f16_e32 v38, v38, v148
	v_add_f16_e32 v173, v34, v40
	v_fma_f16 v34, v167, s10, -v140
	v_mul_f16_e32 v148, 0x35c8, v18
	v_add_f16_e32 v34, v34, v33
	v_fma_f16 v33, v167, s15, -v148
	v_mul_f16_e32 v154, 0xb836, v18
	;; [unrolled: 3-line block ×6, first 2 shown]
	v_add_f16_e32 v40, v33, v170
	v_fma_f16 v33, v167, s11, v35
	v_fma_f16 v35, v167, s11, -v35
	v_mul_f16_e32 v18, 0x3bf7, v18
	v_add_f16_e32 v33, v33, v38
	v_add_f16_e32 v38, v35, v172
	v_fma_f16 v35, v167, s5, v18
	v_fma_f16 v18, v167, s5, -v18
	v_add_f16_e32 v36, v18, v31
	v_fma_f16 v18, v97, s11, -v169
	v_add_f16_e32 v35, v35, v173
	v_add_f16_e32 v18, v18, v171
	v_mul_lo_u16_e32 v31, 17, v30
	s_barrier
	s_and_saveexec_b64 s[4:5], vcc
	s_cbranch_execz .LBB0_7
; %bb.6:
	v_mul_f16_e32 v169, 0x3b76, v65
	v_mul_f16_e32 v171, 0x39e9, v65
	v_mul_f16_e32 v173, 0x3722, v65
	v_mul_f16_e32 v175, 0x2de8, v65
	v_mul_f16_e32 v177, 0xb461, v65
	v_mul_f16_e32 v65, 0xb8d2, v65
	v_mul_f16_e32 v179, 0x39e9, v67
	v_mul_f16_e32 v181, 0x2de8, v67
	v_mul_f16_e32 v183, 0xb8d2, v67
	v_mul_f16_e32 v185, 0xbbdd, v67
	v_mul_f16_e32 v187, 0xbacd, v67
	v_mul_f16_e32 v67, 0xb461, v67
	v_sub_f16_e32 v65, v65, v101
	v_mul_f16_e32 v189, 0x3722, v70
	v_mul_f16_e32 v191, 0xb8d2, v70
	v_mul_f16_e32 v193, 0xbbdd, v70
	v_mul_f16_e32 v195, 0xb461, v70
	v_mul_f16_e32 v197, 0x39e9, v70
	v_mul_f16_e32 v70, 0x3b76, v70
	v_add_f16_e32 v65, v65, v0
	v_sub_f16_e32 v67, v67, v102
	v_mul_f16_e32 v199, 0x2de8, v73
	v_mul_f16_e32 v201, 0xbbdd, v73
	v_mul_f16_e32 v203, 0xb461, v73
	v_mul_f16_e32 v205, 0x3b76, v73
	v_mul_f16_e32 v207, 0x3722, v73
	v_mul_f16_e32 v73, 0xbacd, v73
	v_add_f16_e32 v65, v67, v65
	;; [unrolled: 8-line block ×6, first 2 shown]
	v_sub_f16_e32 v67, v83, v110
	v_mul_f16_e32 v178, 0xb461, v147
	v_add_f16_e32 v65, v67, v65
	v_sub_f16_e32 v67, v97, v112
	v_mul_f16_e32 v188, 0xbacd, v145
	v_add_f16_e32 v65, v67, v65
	v_add_f16_e32 v67, v125, v178
	v_mul_f16_e32 v198, 0x39e9, v153
	v_add_f16_sdwa v67, v67, v0 dst_sel:DWORD dst_unused:UNUSED_PAD src0_sel:DWORD src1_sel:WORD_1
	v_add_f16_e32 v70, v126, v188
	v_mul_f16_e32 v208, 0x3722, v158
	v_add_f16_e32 v67, v70, v67
	v_add_f16_e32 v70, v138, v198
	v_mul_f16_e32 v218, 0xbbdd, v159
	v_add_f16_e32 v67, v70, v67
	;; [unrolled: 3-line block ×5, first 2 shown]
	v_add_f16_e32 v70, v161, v238
	v_add_f16_e32 v67, v70, v67
	;; [unrolled: 1-line block ×4, first 2 shown]
	v_sub_f16_e32 v70, v177, v88
	v_add_f16_e32 v70, v70, v0
	v_sub_f16_e32 v73, v187, v89
	v_add_f16_e32 v70, v73, v70
	;; [unrolled: 2-line block ×6, first 2 shown]
	v_sub_f16_e32 v73, v237, v94
	v_mul_f16_e32 v176, 0x2de8, v147
	v_add_f16_e32 v70, v73, v70
	v_sub_f16_e32 v73, v247, v98
	v_mul_f16_e32 v186, 0xbbdd, v145
	v_add_f16_e32 v70, v73, v70
	v_add_f16_e32 v73, v119, v176
	v_sub_f16_e32 v57, v171, v57
	v_mul_f16_e32 v196, 0xb461, v153
	v_add_f16_sdwa v73, v73, v0 dst_sel:DWORD dst_unused:UNUSED_PAD src0_sel:DWORD src1_sel:WORD_1
	v_add_f16_e32 v76, v120, v186
	v_add_f16_e32 v57, v57, v0
	v_sub_f16_e32 v58, v181, v58
	v_mul_f16_e32 v206, 0x3b76, v158
	v_add_f16_e32 v73, v76, v73
	v_add_f16_e32 v76, v130, v196
	v_add_f16_e32 v57, v58, v57
	v_sub_f16_e32 v58, v191, v61
	v_mul_f16_e32 v216, 0x3722, v159
	v_add_f16_e32 v73, v76, v73
	;; [unrolled: 5-line block ×7, first 2 shown]
	v_sub_f16_e32 v76, v175, v79
	v_sub_f16_e32 v59, v173, v59
	v_add_f16_e32 v57, v58, v57
	v_add_f16_e32 v58, v99, v170
	v_mul_f16_e32 v190, 0x3722, v153
	v_add_f16_e32 v76, v76, v0
	v_sub_f16_e32 v78, v185, v80
	v_add_f16_e32 v59, v59, v0
	v_sub_f16_e32 v60, v183, v60
	v_add_f16_sdwa v58, v58, v0 dst_sel:DWORD dst_unused:UNUSED_PAD src0_sel:DWORD src1_sel:WORD_1
	v_add_f16_e32 v61, v100, v180
	v_mul_f16_e32 v200, 0x2de8, v158
	v_add_f16_e32 v76, v78, v76
	v_sub_f16_e32 v78, v195, v81
	v_add_f16_e32 v59, v60, v59
	v_sub_f16_e32 v60, v193, v62
	v_add_f16_e32 v58, v61, v58
	v_add_f16_e32 v61, v111, v190
	v_mul_f16_e32 v210, 0xb461, v159
	v_add_f16_e32 v76, v78, v76
	v_sub_f16_e32 v78, v205, v82
	v_add_f16_e32 v59, v60, v59
	v_sub_f16_e32 v60, v203, v64
	v_add_f16_e32 v58, v61, v58
	;; [unrolled: 7-line block ×5, first 2 shown]
	v_add_f16_e32 v61, v134, v230
	v_mul_f16_e32 v172, 0x39e9, v147
	v_mul_f16_e32 v174, 0x3722, v147
	;; [unrolled: 1-line block ×3, first 2 shown]
	v_add_f16_e32 v76, v78, v76
	v_sub_f16_e32 v78, v245, v87
	v_add_f16_e32 v59, v60, v59
	v_sub_f16_e32 v60, v243, v77
	v_add_f16_e32 v58, v61, v58
	v_add_f16_e32 v61, v140, v240
	;; [unrolled: 1-line block ×8, first 2 shown]
	v_sub_f16_e32 v61, v169, v95
	v_add_f16_sdwa v132, v132, v0 dst_sel:DWORD dst_unused:UNUSED_PAD src0_sel:DWORD src1_sel:WORD_1
	v_add_f16_sdwa v78, v78, v0 dst_sel:DWORD dst_unused:UNUSED_PAD src0_sel:DWORD src1_sel:WORD_1
	;; [unrolled: 1-line block ×3, first 2 shown]
	v_add_f16_e32 v61, v61, v0
	v_add_f16_sdwa v49, v49, v0 dst_sel:DWORD dst_unused:UNUSED_PAD src0_sel:DWORD src1_sel:WORD_1
	v_add_f16_e32 v0, v1, v0
	v_mul_f16_e32 v182, 0x2de8, v145
	v_add_f16_e32 v47, v47, v49
	v_add_f16_e32 v0, v19, v0
	v_mul_f16_e32 v192, 0xb8d2, v153
	v_add_f16_e32 v62, v104, v182
	v_add_f16_e32 v45, v45, v47
	v_add_f16_e32 v0, v20, v0
	v_mul_f16_e32 v202, 0xbbdd, v158
	v_add_f16_e32 v60, v62, v60
	v_add_f16_e32 v62, v117, v192
	v_add_f16_e32 v28, v28, v45
	v_add_f16_e32 v0, v21, v0
	v_mul_f16_e32 v212, 0xbacd, v159
	v_add_f16_e32 v60, v62, v60
	;; [unrolled: 5-line block ×5, first 2 shown]
	v_add_f16_e32 v62, v141, v232
	v_add_f16_e32 v27, v50, v27
	;; [unrolled: 1-line block ×7, first 2 shown]
	v_mul_f16_e32 v184, 0xb8d2, v145
	v_add_f16_e32 v60, v62, v60
	v_sub_f16_e32 v62, v179, v96
	v_add_f16_e32 v17, v43, v17
	v_add_f16_e32 v0, v6, v0
	v_mul_f16_e32 v145, 0xb461, v145
	v_mul_f16_e32 v194, 0xbbdd, v153
	v_add_f16_e32 v79, v115, v184
	v_add_f16_e32 v61, v62, v61
	v_sub_f16_e32 v62, v189, v106
	v_add_f16_e32 v17, v51, v17
	v_add_f16_e32 v0, v7, v0
	v_mul_f16_e32 v153, 0x3b76, v153
	v_mul_f16_e32 v204, 0xb461, v158
	v_add_f16_e32 v133, v133, v145
	v_add_f16_e32 v78, v79, v78
	v_add_f16_e32 v79, v123, v194
	v_add_f16_e32 v61, v62, v61
	v_sub_f16_e32 v62, v199, v113
	v_add_f16_e32 v17, v52, v17
	v_add_f16_e32 v0, v23, v0
	v_mul_f16_e32 v158, 0xbacd, v158
	v_mul_f16_e32 v214, 0x39e9, v159
	v_add_f16_e32 v132, v133, v132
	v_add_f16_e32 v133, v146, v153
	v_add_f16_e32 v78, v79, v78
	v_add_f16_e32 v79, v129, v204
	v_add_f16_e32 v61, v62, v61
	v_sub_f16_e32 v62, v209, v118
	v_add_f16_e32 v17, v53, v17
	v_add_f16_e32 v0, v24, v0
	v_mul_f16_e32 v159, 0x2de8, v159
	v_mul_f16_e32 v224, 0x3b76, v163
	v_add_f16_e32 v132, v133, v132
	;; [unrolled: 10-line block ×4, first 2 shown]
	v_add_f16_e32 v133, v162, v163
	v_add_f16_e32 v78, v79, v78
	;; [unrolled: 1-line block ×4, first 2 shown]
	v_sub_f16_e32 v62, v239, v139
	v_add_f16_sdwa v17, v56, v17 dst_sel:WORD_1 dst_unused:UNUSED_PAD src0_sel:DWORD src1_sel:DWORD
	v_add_f16_e32 v0, v48, v0
	v_mul_f16_e32 v167, 0x3722, v167
	v_add_f16_e32 v132, v133, v132
	v_add_f16_e32 v133, v165, v166
	;; [unrolled: 1-line block ×5, first 2 shown]
	v_or_b32_e32 v0, v17, v0
	v_lshlrev_b32_e32 v1, 2, v31
	v_add_f16_e32 v132, v133, v132
	v_add_f16_e32 v133, v168, v167
	;; [unrolled: 1-line block ×3, first 2 shown]
	ds_write_b32 v1, v0
	v_pack_b32_f16 v0, v57, v60
	v_pack_b32_f16 v2, v61, v58
	v_add_f16_e32 v132, v133, v132
	ds_write2_b32 v1, v2, v0 offset0:1 offset1:2
	v_pack_b32_f16 v0, v76, v73
	v_pack_b32_f16 v2, v59, v78
	ds_write2_b32 v1, v2, v0 offset0:3 offset1:4
	v_pack_b32_f16 v0, v65, v132
	v_pack_b32_f16 v2, v70, v67
	s_mov_b32 s8, 0x5040100
	ds_write2_b32 v1, v2, v0 offset0:5 offset1:6
	v_perm_b32 v0, v35, v15, s8
	v_perm_b32 v2, v33, v18, s8
	ds_write2_b32 v1, v2, v0 offset0:7 offset1:8
	v_perm_b32 v0, v38, v13, s8
	v_perm_b32 v2, v36, v16, s8
	;; [unrolled: 3-line block ×5, first 2 shown]
	ds_write2_b32 v1, v2, v0 offset0:15 offset1:16
.LBB0_7:
	s_or_b64 exec, exec, s[4:5]
	s_load_dwordx4 s[8:11], s[2:3], 0x0
	s_movk_i32 s2, 0xf1
	v_mul_lo_u16_sdwa v0, v30, s2 dst_sel:DWORD dst_unused:UNUSED_PAD src0_sel:BYTE_0 src1_sel:DWORD
	v_lshrrev_b16_e32 v17, 12, v0
	v_mul_lo_u16_e32 v0, 17, v17
	v_sub_u16_e32 v0, v30, v0
	v_and_b32_e32 v23, 0xff, v0
	v_mul_u32_u24_e32 v0, 6, v23
	v_lshlrev_b32_e32 v4, 2, v0
	s_waitcnt lgkmcnt(0)
	s_barrier
	global_load_dwordx4 v[0:3], v4, s[0:1]
	global_load_dwordx2 v[19:20], v4, s[0:1] offset:16
	v_add_u32_e32 v51, 0x200, v29
	v_add_u32_e32 v50, 0x600, v29
	ds_read2_b32 v[4:5], v29 offset1:119
	ds_read_b32 v24, v29 offset:2856
	ds_read2_b32 v[6:7], v51 offset0:110 offset1:229
	ds_read2_b32 v[21:22], v50 offset0:92 offset1:211
	s_movk_i32 s3, 0x2b26
	s_waitcnt lgkmcnt(3)
	v_lshrrev_b32_e32 v25, 16, v5
	s_waitcnt lgkmcnt(2)
	v_lshrrev_b32_e32 v26, 16, v24
	;; [unrolled: 2-line block ×4, first 2 shown]
	v_lshrrev_b32_e32 v28, 16, v7
	v_lshrrev_b32_e32 v43, 16, v21
	s_mov_b32 s4, 0xbcab
	s_movk_i32 s5, 0x39e0
	s_mov_b32 s14, 0xb9e0
	s_movk_i32 s15, 0x3574
	s_movk_i32 s2, 0x3b00
	s_mov_b32 s16, 0xb574
	s_movk_i32 s17, 0x370e
	v_mul_u32_u24_e32 v17, 0x77, v17
	s_waitcnt vmcnt(0)
	s_barrier
	v_mul_f16_sdwa v45, v25, v0 dst_sel:DWORD dst_unused:UNUSED_PAD src0_sel:DWORD src1_sel:WORD_1
	v_mul_f16_sdwa v46, v5, v0 dst_sel:DWORD dst_unused:UNUSED_PAD src0_sel:DWORD src1_sel:WORD_1
	;; [unrolled: 1-line block ×12, first 2 shown]
	v_fma_f16 v5, v5, v0, -v45
	v_fma_f16 v25, v25, v0, v46
	v_fma_f16 v6, v6, v1, -v47
	v_fma_f16 v27, v27, v1, v48
	;; [unrolled: 2-line block ×6, first 2 shown]
	v_add_f16_e32 v45, v5, v24
	v_add_f16_e32 v46, v25, v26
	v_sub_f16_e32 v5, v5, v24
	v_sub_f16_e32 v24, v25, v26
	v_add_f16_e32 v25, v6, v22
	v_add_f16_e32 v26, v27, v44
	v_sub_f16_e32 v6, v6, v22
	v_sub_f16_e32 v22, v27, v44
	;; [unrolled: 4-line block ×4, first 2 shown]
	v_sub_f16_e32 v45, v45, v27
	v_sub_f16_e32 v46, v46, v44
	;; [unrolled: 1-line block ×4, first 2 shown]
	v_add_f16_e32 v49, v7, v6
	v_add_f16_e32 v52, v21, v22
	v_sub_f16_e32 v53, v7, v6
	v_sub_f16_e32 v54, v21, v22
	v_add_f16_e32 v27, v27, v28
	v_add_f16_e32 v28, v44, v43
	v_sub_f16_e32 v7, v5, v7
	v_sub_f16_e32 v21, v24, v21
	;; [unrolled: 1-line block ×4, first 2 shown]
	v_add_f16_e32 v5, v49, v5
	v_add_f16_e32 v24, v52, v24
	v_mul_f16_e32 v43, 0x3a52, v45
	v_mul_f16_e32 v44, 0x3a52, v46
	;; [unrolled: 1-line block ×6, first 2 shown]
	v_add_f16_e32 v55, v27, v4
	v_add_f16_sdwa v4, v28, v4 dst_sel:DWORD dst_unused:UNUSED_PAD src0_sel:DWORD src1_sel:WORD_1
	v_mul_f16_e32 v53, 0x3b00, v6
	v_mul_f16_e32 v54, 0x3b00, v22
	v_lshlrev_b32_e32 v56, 16, v4
	v_fma_f16 v27, v27, s4, v55
	v_fma_f16 v4, v28, s4, v4
	v_fma_f16 v25, v25, s3, v43
	v_fma_f16 v26, v26, s3, v44
	v_fma_f16 v28, v47, s5, -v45
	v_fma_f16 v45, v48, s5, -v46
	;; [unrolled: 1-line block ×4, first 2 shown]
	v_fma_f16 v46, v7, s15, v49
	v_fma_f16 v47, v21, s15, v52
	v_fma_f16 v6, v6, s2, -v49
	v_fma_f16 v22, v22, s2, -v52
	;; [unrolled: 1-line block ×4, first 2 shown]
	v_add_f16_e32 v25, v25, v27
	v_add_f16_e32 v26, v26, v4
	;; [unrolled: 1-line block ×6, first 2 shown]
	v_fma_f16 v43, v5, s17, v46
	v_fma_f16 v44, v24, s17, v47
	;; [unrolled: 1-line block ×6, first 2 shown]
	v_add_f16_e32 v21, v44, v25
	v_sub_f16_e32 v24, v26, v43
	v_sub_f16_e32 v47, v4, v5
	v_add_f16_e32 v4, v5, v4
	v_sub_f16_e32 v5, v25, v44
	v_add_f16_e32 v25, v43, v26
	v_add_lshl_u32 v43, v17, v23, 2
	v_pack_b32_f16 v17, v21, v24
	v_mad_u64_u32 v[23:24], s[0:1], v30, 24, s[0:1]
	v_add_f16_e32 v46, v7, v27
	v_sub_f16_e32 v48, v28, v22
	v_add_f16_e32 v49, v6, v45
	v_add_f16_e32 v22, v22, v28
	v_sub_f16_e32 v6, v45, v6
	v_sub_f16_e32 v7, v27, v7
	v_or_b32_e32 v56, v56, v55
	v_pack_b32_f16 v6, v22, v6
	v_pack_b32_f16 v4, v7, v4
	ds_write2_b32 v43, v56, v17 offset1:17
	v_pack_b32_f16 v17, v46, v47
	v_pack_b32_f16 v21, v48, v49
	ds_write2_b32 v43, v6, v4 offset0:68 offset1:85
	v_pack_b32_f16 v4, v5, v25
	ds_write2_b32 v43, v17, v21 offset0:34 offset1:51
	ds_write_b32 v43, v4 offset:408
	s_waitcnt lgkmcnt(0)
	s_barrier
	global_load_dwordx4 v[4:7], v[23:24], off offset:408
	global_load_dwordx2 v[21:22], v[23:24], off offset:424
	ds_read2_b32 v[23:24], v29 offset1:119
	ds_read2_b32 v[25:26], v51 offset0:110 offset1:229
	ds_read2_b32 v[27:28], v50 offset0:92 offset1:211
	ds_read_b32 v17, v29 offset:2856
	s_waitcnt lgkmcnt(3)
	v_lshrrev_b32_e32 v44, 16, v24
	s_waitcnt lgkmcnt(2)
	v_lshrrev_b32_e32 v46, 16, v26
	;; [unrolled: 2-line block ×3, first 2 shown]
	v_lshrrev_b32_e32 v48, 16, v28
	s_waitcnt lgkmcnt(0)
	v_lshrrev_b32_e32 v49, 16, v17
	v_lshrrev_b32_e32 v45, 16, v25
	s_waitcnt vmcnt(1)
	v_mul_f16_sdwa v52, v44, v4 dst_sel:DWORD dst_unused:UNUSED_PAD src0_sel:DWORD src1_sel:WORD_1
	v_mul_f16_sdwa v53, v24, v4 dst_sel:DWORD dst_unused:UNUSED_PAD src0_sel:DWORD src1_sel:WORD_1
	v_fma_f16 v24, v24, v4, -v52
	v_mul_f16_sdwa v52, v46, v6 dst_sel:DWORD dst_unused:UNUSED_PAD src0_sel:DWORD src1_sel:WORD_1
	v_fma_f16 v52, v26, v6, -v52
	v_mul_f16_sdwa v26, v26, v6 dst_sel:DWORD dst_unused:UNUSED_PAD src0_sel:DWORD src1_sel:WORD_1
	v_fma_f16 v26, v46, v6, v26
	v_mul_f16_sdwa v46, v47, v7 dst_sel:DWORD dst_unused:UNUSED_PAD src0_sel:DWORD src1_sel:WORD_1
	v_fma_f16 v46, v27, v7, -v46
	v_mul_f16_sdwa v27, v27, v7 dst_sel:DWORD dst_unused:UNUSED_PAD src0_sel:DWORD src1_sel:WORD_1
	v_fma_f16 v27, v47, v7, v27
	s_waitcnt vmcnt(0)
	v_mul_f16_sdwa v47, v48, v21 dst_sel:DWORD dst_unused:UNUSED_PAD src0_sel:DWORD src1_sel:WORD_1
	v_fma_f16 v47, v28, v21, -v47
	v_mul_f16_sdwa v28, v28, v21 dst_sel:DWORD dst_unused:UNUSED_PAD src0_sel:DWORD src1_sel:WORD_1
	v_fma_f16 v28, v48, v21, v28
	v_mul_f16_sdwa v48, v49, v22 dst_sel:DWORD dst_unused:UNUSED_PAD src0_sel:DWORD src1_sel:WORD_1
	v_mul_f16_sdwa v54, v45, v5 dst_sel:DWORD dst_unused:UNUSED_PAD src0_sel:DWORD src1_sel:WORD_1
	;; [unrolled: 1-line block ×3, first 2 shown]
	v_fma_f16 v48, v17, v22, -v48
	v_mul_f16_sdwa v17, v17, v22 dst_sel:DWORD dst_unused:UNUSED_PAD src0_sel:DWORD src1_sel:WORD_1
	v_fma_f16 v44, v44, v4, v53
	v_fma_f16 v25, v25, v5, -v54
	v_fma_f16 v45, v45, v5, v55
	v_fma_f16 v17, v49, v22, v17
	v_add_f16_e32 v49, v24, v48
	v_add_f16_e32 v53, v44, v17
	v_sub_f16_e32 v24, v24, v48
	v_sub_f16_e32 v17, v44, v17
	v_add_f16_e32 v44, v25, v47
	v_add_f16_e32 v48, v45, v28
	v_sub_f16_e32 v25, v25, v47
	v_sub_f16_e32 v28, v45, v28
	;; [unrolled: 4-line block ×4, first 2 shown]
	v_sub_f16_e32 v44, v45, v44
	v_add_f16_e32 v27, v45, v27
	v_add_f16_e32 v45, v47, v52
	v_sub_f16_e32 v55, v48, v53
	v_sub_f16_e32 v53, v53, v47
	;; [unrolled: 1-line block ×3, first 2 shown]
	v_add_f16_e32 v56, v46, v25
	v_add_f16_e32 v57, v26, v28
	v_sub_f16_e32 v58, v46, v25
	v_sub_f16_e32 v59, v26, v28
	v_add_f16_sdwa v52, v45, v23 dst_sel:DWORD dst_unused:UNUSED_PAD src0_sel:DWORD src1_sel:WORD_1
	v_sub_f16_e32 v46, v24, v46
	v_sub_f16_e32 v26, v17, v26
	;; [unrolled: 1-line block ×4, first 2 shown]
	v_add_f16_e32 v24, v56, v24
	v_add_f16_e32 v17, v57, v17
	;; [unrolled: 1-line block ×3, first 2 shown]
	v_lshlrev_b32_e32 v23, 16, v52
	v_mul_f16_e32 v49, 0x3a52, v49
	v_mul_f16_e32 v53, 0x3a52, v53
	;; [unrolled: 1-line block ×6, first 2 shown]
	v_or_b32_e32 v23, v23, v47
	v_mul_f16_e32 v60, 0x3b00, v25
	v_mul_f16_e32 v61, 0x3b00, v28
	v_fma_f16 v27, v27, s4, v47
	v_fma_f16 v45, v45, s4, v52
	;; [unrolled: 1-line block ×4, first 2 shown]
	v_fma_f16 v48, v54, s5, -v56
	v_fma_f16 v52, v55, s5, -v57
	;; [unrolled: 1-line block ×4, first 2 shown]
	v_fma_f16 v54, v46, s15, v58
	v_fma_f16 v55, v26, s15, v59
	v_fma_f16 v25, v25, s2, -v58
	v_fma_f16 v28, v28, s2, -v59
	;; [unrolled: 1-line block ×4, first 2 shown]
	v_add_f16_e32 v56, v44, v27
	v_add_f16_e32 v57, v47, v45
	;; [unrolled: 1-line block ×5, first 2 shown]
	v_fma_f16 v53, v24, s17, v54
	v_fma_f16 v54, v17, s17, v55
	v_add_f16_e32 v49, v49, v27
	v_fma_f16 v55, v24, s17, v25
	v_fma_f16 v27, v17, s17, v28
	;; [unrolled: 1-line block ×4, first 2 shown]
	v_add_f16_e32 v24, v54, v56
	v_sub_f16_e32 v44, v57, v53
	v_add_f16_e32 v25, v17, v49
	v_sub_f16_e32 v45, v52, v58
	v_sub_f16_e32 v26, v47, v27
	v_add_f16_e32 v46, v55, v48
	v_add_f16_e32 v27, v27, v47
	v_sub_f16_e32 v47, v48, v55
	v_add_f16_e32 v48, v58, v52
	v_pack_b32_f16 v52, v24, v44
	v_sub_f16_e32 v28, v49, v17
	v_add_f16_e32 v49, v53, v57
	ds_write2_b32 v29, v23, v52 offset1:119
	v_pack_b32_f16 v52, v25, v45
	v_pack_b32_f16 v53, v26, v46
	v_sub_f16_e32 v17, v56, v54
	ds_write2_b32 v51, v52, v53 offset0:110 offset1:229
	v_pack_b32_f16 v51, v27, v47
	v_pack_b32_f16 v52, v28, v48
	ds_write2_b32 v50, v51, v52 offset0:92 offset1:211
	v_pack_b32_f16 v51, v17, v49
	ds_write_b32 v29, v51 offset:2856
	s_waitcnt lgkmcnt(0)
	s_barrier
	s_and_saveexec_b64 s[0:1], vcc
	s_cbranch_execz .LBB0_9
; %bb.8:
	global_load_dword v53, v29, s[6:7] offset:3332
	s_add_u32 s2, s6, 0xd04
	s_addc_u32 s3, s7, 0
	global_load_dword v54, v29, s[2:3] offset:196
	global_load_dword v61, v29, s[2:3] offset:392
	;; [unrolled: 1-line block ×10, first 2 shown]
	ds_read2_b32 v[51:52], v29 offset1:49
	global_load_dword v71, v29, s[2:3] offset:2156
	global_load_dword v72, v29, s[2:3] offset:2548
	;; [unrolled: 1-line block ×6, first 2 shown]
	v_add_u32_e32 v70, 0x400, v29
	s_waitcnt lgkmcnt(0)
	v_lshrrev_b32_e32 v55, 16, v51
	v_lshrrev_b32_e32 v56, 16, v52
	s_waitcnt vmcnt(16)
	v_mul_f16_sdwa v57, v55, v53 dst_sel:DWORD dst_unused:UNUSED_PAD src0_sel:DWORD src1_sel:WORD_1
	v_mul_f16_sdwa v58, v51, v53 dst_sel:DWORD dst_unused:UNUSED_PAD src0_sel:DWORD src1_sel:WORD_1
	v_fma_f16 v51, v51, v53, -v57
	v_fma_f16 v53, v55, v53, v58
	v_pack_b32_f16 v51, v51, v53
	s_waitcnt vmcnt(15)
	v_mul_f16_sdwa v53, v56, v54 dst_sel:DWORD dst_unused:UNUSED_PAD src0_sel:DWORD src1_sel:WORD_1
	v_mul_f16_sdwa v55, v52, v54 dst_sel:DWORD dst_unused:UNUSED_PAD src0_sel:DWORD src1_sel:WORD_1
	v_fma_f16 v52, v52, v54, -v53
	v_fma_f16 v53, v56, v54, v55
	v_pack_b32_f16 v52, v52, v53
	ds_write2_b32 v29, v51, v52 offset1:49
	ds_read2_b32 v[51:52], v29 offset0:98 offset1:147
	ds_read2_b32 v[53:54], v29 offset0:196 offset1:245
	;; [unrolled: 1-line block ×5, first 2 shown]
	ds_read_b32 v77, v29 offset:3136
	s_waitcnt lgkmcnt(5)
	v_lshrrev_b32_e32 v78, 16, v51
	s_waitcnt vmcnt(14)
	v_mul_f16_sdwa v79, v51, v61 dst_sel:DWORD dst_unused:UNUSED_PAD src0_sel:DWORD src1_sel:WORD_1
	v_lshrrev_b32_e32 v80, 16, v52
	s_waitcnt vmcnt(13)
	v_mul_f16_sdwa v81, v52, v62 dst_sel:DWORD dst_unused:UNUSED_PAD src0_sel:DWORD src1_sel:WORD_1
	s_waitcnt lgkmcnt(4)
	v_lshrrev_b32_e32 v82, 16, v53
	s_waitcnt vmcnt(12)
	v_mul_f16_sdwa v83, v53, v63 dst_sel:DWORD dst_unused:UNUSED_PAD src0_sel:DWORD src1_sel:WORD_1
	v_lshrrev_b32_e32 v84, 16, v54
	s_waitcnt vmcnt(11)
	v_mul_f16_sdwa v85, v54, v64 dst_sel:DWORD dst_unused:UNUSED_PAD src0_sel:DWORD src1_sel:WORD_1
	;; [unrolled: 7-line block ×3, first 2 shown]
	s_waitcnt lgkmcnt(2)
	v_lshrrev_b32_e32 v90, 16, v57
	s_waitcnt vmcnt(8)
	v_mul_f16_sdwa v91, v57, v67 dst_sel:DWORD dst_unused:UNUSED_PAD src0_sel:DWORD src1_sel:WORD_1
	v_lshrrev_b32_e32 v92, 16, v58
	v_mul_f16_sdwa v96, v78, v61 dst_sel:DWORD dst_unused:UNUSED_PAD src0_sel:DWORD src1_sel:WORD_1
	v_fma_f16 v78, v78, v61, v79
	v_mul_f16_sdwa v79, v80, v62 dst_sel:DWORD dst_unused:UNUSED_PAD src0_sel:DWORD src1_sel:WORD_1
	v_fma_f16 v80, v80, v62, v81
	;; [unrolled: 2-line block ×3, first 2 shown]
	v_mul_f16_sdwa v83, v84, v64 dst_sel:DWORD dst_unused:UNUSED_PAD src0_sel:DWORD src1_sel:WORD_1
	s_waitcnt vmcnt(7)
	v_mul_f16_sdwa v93, v58, v68 dst_sel:DWORD dst_unused:UNUSED_PAD src0_sel:DWORD src1_sel:WORD_1
	s_waitcnt lgkmcnt(1)
	v_lshrrev_b32_e32 v94, 16, v59
	v_fma_f16 v84, v84, v64, v85
	v_mul_f16_sdwa v85, v86, v65 dst_sel:DWORD dst_unused:UNUSED_PAD src0_sel:DWORD src1_sel:WORD_1
	v_fma_f16 v86, v86, v65, v87
	v_mul_f16_sdwa v87, v88, v66 dst_sel:DWORD dst_unused:UNUSED_PAD src0_sel:DWORD src1_sel:WORD_1
	;; [unrolled: 2-line block ×4, first 2 shown]
	v_fma_f16 v51, v51, v61, -v96
	v_fma_f16 v52, v52, v62, -v79
	;; [unrolled: 1-line block ×3, first 2 shown]
	s_waitcnt vmcnt(6)
	v_mul_f16_sdwa v95, v59, v69 dst_sel:DWORD dst_unused:UNUSED_PAD src0_sel:DWORD src1_sel:WORD_1
	v_fma_f16 v92, v92, v68, v93
	v_mul_f16_sdwa v93, v94, v69 dst_sel:DWORD dst_unused:UNUSED_PAD src0_sel:DWORD src1_sel:WORD_1
	v_fma_f16 v53, v53, v63, -v81
	v_fma_f16 v55, v55, v65, -v85
	v_fma_f16 v56, v56, v66, -v87
	v_fma_f16 v57, v57, v67, -v89
	v_fma_f16 v58, v58, v68, -v91
	v_pack_b32_f16 v51, v51, v78
	v_pack_b32_f16 v52, v52, v80
	;; [unrolled: 1-line block ×3, first 2 shown]
	v_fma_f16 v59, v59, v69, -v93
	v_pack_b32_f16 v53, v53, v82
	v_pack_b32_f16 v55, v55, v86
	;; [unrolled: 1-line block ×5, first 2 shown]
	ds_write2_b32 v29, v51, v52 offset0:98 offset1:147
	ds_write2_b32 v29, v53, v54 offset0:196 offset1:245
	;; [unrolled: 1-line block ×4, first 2 shown]
	v_fma_f16 v51, v94, v69, v95
	v_lshrrev_b32_e32 v54, 16, v60
	v_pack_b32_f16 v53, v59, v51
	s_waitcnt vmcnt(5)
	v_mul_f16_sdwa v51, v54, v71 dst_sel:DWORD dst_unused:UNUSED_PAD src0_sel:DWORD src1_sel:WORD_1
	v_add_u32_e32 v56, 0x800, v29
	v_fma_f16 v55, v60, v71, -v51
	ds_read2_b32 v[51:52], v56 offset0:76 offset1:125
	v_mul_f16_sdwa v57, v60, v71 dst_sel:DWORD dst_unused:UNUSED_PAD src0_sel:DWORD src1_sel:WORD_1
	v_fma_f16 v54, v54, v71, v57
	v_pack_b32_f16 v54, v55, v54
	ds_write2_b32 v50, v53, v54 offset0:106 offset1:155
	s_waitcnt lgkmcnt(1)
	v_lshrrev_b32_e32 v50, 16, v51
	s_waitcnt vmcnt(3)
	v_mul_f16_sdwa v53, v50, v73 dst_sel:DWORD dst_unused:UNUSED_PAD src0_sel:DWORD src1_sel:WORD_1
	v_fma_f16 v53, v51, v73, -v53
	v_mul_f16_sdwa v51, v51, v73 dst_sel:DWORD dst_unused:UNUSED_PAD src0_sel:DWORD src1_sel:WORD_1
	v_fma_f16 v50, v50, v73, v51
	v_lshrrev_b32_e32 v54, 16, v52
	v_pack_b32_f16 v53, v53, v50
	v_mul_f16_sdwa v50, v54, v72 dst_sel:DWORD dst_unused:UNUSED_PAD src0_sel:DWORD src1_sel:WORD_1
	v_fma_f16 v55, v52, v72, -v50
	ds_read2_b32 v[50:51], v56 offset0:174 offset1:223
	v_mul_f16_sdwa v52, v52, v72 dst_sel:DWORD dst_unused:UNUSED_PAD src0_sel:DWORD src1_sel:WORD_1
	v_fma_f16 v52, v54, v72, v52
	v_pack_b32_f16 v52, v55, v52
	ds_write2_b32 v56, v53, v52 offset0:76 offset1:125
	s_waitcnt lgkmcnt(1)
	v_lshrrev_b32_e32 v52, 16, v50
	s_waitcnt vmcnt(2)
	v_mul_f16_sdwa v53, v52, v74 dst_sel:DWORD dst_unused:UNUSED_PAD src0_sel:DWORD src1_sel:WORD_1
	v_fma_f16 v53, v50, v74, -v53
	v_mul_f16_sdwa v50, v50, v74 dst_sel:DWORD dst_unused:UNUSED_PAD src0_sel:DWORD src1_sel:WORD_1
	v_fma_f16 v50, v52, v74, v50
	v_lshrrev_b32_e32 v52, 16, v51
	v_pack_b32_f16 v50, v53, v50
	s_waitcnt vmcnt(1)
	v_mul_f16_sdwa v53, v52, v75 dst_sel:DWORD dst_unused:UNUSED_PAD src0_sel:DWORD src1_sel:WORD_1
	v_fma_f16 v53, v51, v75, -v53
	v_mul_f16_sdwa v51, v51, v75 dst_sel:DWORD dst_unused:UNUSED_PAD src0_sel:DWORD src1_sel:WORD_1
	v_fma_f16 v51, v52, v75, v51
	v_pack_b32_f16 v51, v53, v51
	ds_write2_b32 v56, v50, v51 offset0:174 offset1:223
	v_lshrrev_b32_e32 v50, 16, v77
	s_waitcnt vmcnt(0)
	v_mul_f16_sdwa v51, v50, v76 dst_sel:DWORD dst_unused:UNUSED_PAD src0_sel:DWORD src1_sel:WORD_1
	v_mul_f16_sdwa v52, v77, v76 dst_sel:DWORD dst_unused:UNUSED_PAD src0_sel:DWORD src1_sel:WORD_1
	v_fma_f16 v51, v77, v76, -v51
	v_fma_f16 v50, v50, v76, v52
	v_pack_b32_f16 v50, v51, v50
	ds_write_b32 v29, v50 offset:3136
.LBB0_9:
	s_or_b64 exec, exec, s[0:1]
	s_waitcnt lgkmcnt(0)
	s_barrier
	s_and_saveexec_b64 s[0:1], vcc
	s_cbranch_execz .LBB0_11
; %bb.10:
	v_add_u32_e32 v9, 0x400, v29
	ds_read2_b32 v[23:24], v29 offset1:49
	ds_read2_b32 v[25:26], v29 offset0:98 offset1:147
	ds_read2_b32 v[27:28], v29 offset0:196 offset1:245
	;; [unrolled: 1-line block ×4, first 2 shown]
	v_add_u32_e32 v9, 0x600, v29
	ds_read2_b32 v[13:14], v9 offset0:106 offset1:155
	v_add_u32_e32 v9, 0x800, v29
	ds_read2_b32 v[11:12], v9 offset0:76 offset1:125
	ds_read2_b32 v[9:10], v9 offset0:174 offset1:223
	ds_read_b32 v32, v29 offset:3136
	s_waitcnt lgkmcnt(8)
	v_lshrrev_b32_e32 v44, 16, v24
	s_waitcnt lgkmcnt(7)
	v_lshrrev_b32_e32 v45, 16, v25
	v_lshrrev_b32_e32 v46, 16, v26
	s_waitcnt lgkmcnt(6)
	v_lshrrev_b32_e32 v47, 16, v27
	v_lshrrev_b32_e32 v48, 16, v28
	s_waitcnt lgkmcnt(5)
	v_lshrrev_b32_e32 v49, 16, v17
	v_lshrrev_b32_e32 v33, 16, v18
	s_waitcnt lgkmcnt(4)
	v_lshrrev_b32_e32 v35, 16, v15
	v_lshrrev_b32_e32 v36, 16, v16
	s_waitcnt lgkmcnt(3)
	v_lshrrev_b32_e32 v38, 16, v13
	v_lshrrev_b32_e32 v40, 16, v14
	s_waitcnt lgkmcnt(2)
	v_lshrrev_b32_e32 v42, 16, v11
	v_lshrrev_b32_e32 v41, 16, v12
	s_waitcnt lgkmcnt(1)
	v_lshrrev_b32_e32 v39, 16, v9
	v_lshrrev_b32_e32 v37, 16, v10
	s_waitcnt lgkmcnt(0)
	v_lshrrev_b32_e32 v34, 16, v32
.LBB0_11:
	s_or_b64 exec, exec, s[0:1]
	s_barrier
	s_and_saveexec_b64 s[0:1], vcc
	s_cbranch_execz .LBB0_13
; %bb.12:
	v_add_f16_e32 v73, v34, v44
	v_mul_f16_e32 v74, 0xbbdd, v73
	v_sub_f16_e32 v51, v24, v32
	s_movk_i32 s25, 0x31e1
	v_add_f16_e32 v75, v37, v45
	v_fma_f16 v50, v51, s25, v74
	v_mul_f16_e32 v76, 0x3b76, v75
	v_sub_f16_e32 v52, v25, v10
	s_mov_b32 s15, 0xb5c8
	v_add_f16_sdwa v50, v50, v23 dst_sel:DWORD dst_unused:UNUSED_PAD src0_sel:DWORD src1_sel:WORD_1
	v_fma_f16 v53, v52, s15, v76
	v_add_f16_e32 v77, v39, v46
	v_add_f16_e32 v50, v53, v50
	v_mul_f16_e32 v78, 0xbacd, v77
	v_sub_f16_e32 v53, v26, v9
	s_movk_i32 s21, 0x3836
	v_fma_f16 v54, v53, s21, v78
	v_add_f16_e32 v79, v41, v47
	v_add_f16_e32 v50, v54, v50
	v_mul_f16_e32 v80, 0x39e9, v79
	v_sub_f16_e32 v54, v27, v12
	s_mov_b32 s18, 0xb964
	v_fma_f16 v55, v54, s18, v80
	v_add_f16_e32 v81, v42, v48
	v_add_f16_e32 v50, v55, v50
	v_mul_f16_e32 v82, 0xb8d2, v81
	v_sub_f16_e32 v55, v28, v11
	s_movk_i32 s31, 0x3a62
	v_add_f16_e32 v83, v40, v49
	v_fma_f16 v56, v55, s31, v82
	v_mul_f16_e32 v84, 0x3722, v83
	v_sub_f16_e32 v57, v17, v14
	s_mov_b32 s20, 0xbb29
	v_add_f16_e32 v85, v38, v33
	v_add_f16_e32 v50, v56, v50
	v_fma_f16 v56, v57, s20, v84
	v_mul_f16_e32 v86, 0xb461, v85
	v_sub_f16_e32 v58, v18, v13
	s_movk_i32 s26, 0x3bb2
	v_add_f16_e32 v87, v36, v35
	v_add_f16_e32 v50, v56, v50
	v_fma_f16 v56, v58, s26, v86
	v_mul_f16_e32 v88, 0x2de8, v87
	v_sub_f16_e32 v59, v15, v16
	s_mov_b32 s23, 0xbbf7
	v_sub_f16_e32 v89, v44, v34
	s_mov_b32 s2, 0xbbdd
	v_add_f16_e32 v50, v56, v50
	v_fma_f16 v56, v59, s23, v88
	v_add_f16_e32 v60, v32, v24
	v_mul_f16_e32 v90, 0xb1e1, v89
	v_sub_f16_e32 v91, v45, v37
	s_movk_i32 s4, 0x3b76
	v_add_f16_e32 v50, v56, v50
	v_fma_f16 v56, v60, s2, v90
	v_add_f16_e32 v61, v10, v25
	v_mul_f16_e32 v92, 0x35c8, v91
	v_add_f16_e32 v56, v56, v23
	v_fma_f16 v62, v61, s4, v92
	v_sub_f16_e32 v93, v46, v39
	s_mov_b32 s3, 0xbacd
	v_add_f16_e32 v56, v62, v56
	v_add_f16_e32 v62, v9, v26
	v_mul_f16_e32 v94, 0xb836, v93
	v_sub_f16_e32 v95, v47, v41
	s_movk_i32 s14, 0x39e9
	v_fma_f16 v63, v62, s3, v94
	v_add_f16_e32 v64, v12, v27
	v_mul_f16_e32 v96, 0x3964, v95
	v_sub_f16_e32 v97, v48, v42
	s_mov_b32 s5, 0xb8d2
	v_add_f16_e32 v56, v63, v56
	v_fma_f16 v63, v64, s14, v96
	v_add_f16_e32 v65, v11, v28
	v_mul_f16_e32 v98, 0xba62, v97
	v_sub_f16_e32 v99, v49, v40
	s_movk_i32 s16, 0x3722
	v_add_f16_e32 v56, v63, v56
	v_fma_f16 v63, v65, s5, v98
	v_add_f16_e32 v66, v14, v17
	v_mul_f16_e32 v100, 0x3b29, v99
	v_sub_f16_e32 v101, v33, v38
	s_mov_b32 s17, 0xb461
	v_add_f16_e32 v56, v63, v56
	v_fma_f16 v63, v66, s16, v100
	v_add_f16_e32 v67, v13, v18
	v_mul_f16_e32 v102, 0xbbb2, v101
	v_sub_f16_e32 v103, v35, v36
	s_movk_i32 s19, 0x2de8
	v_add_f16_e32 v56, v63, v56
	v_fma_f16 v63, v67, s17, v102
	v_add_f16_e32 v68, v16, v15
	v_mul_f16_e32 v104, 0x3bf7, v103
	v_add_f16_e32 v56, v63, v56
	v_fma_f16 v63, v68, s19, v104
	v_mul_f16_e32 v105, 0xbacd, v73
	v_add_f16_e32 v56, v63, v56
	v_fma_f16 v63, v51, s21, v105
	v_mul_f16_e32 v106, 0x3722, v75
	s_movk_i32 s34, 0x3bf7
	v_add_f16_sdwa v63, v63, v23 dst_sel:DWORD dst_unused:UNUSED_PAD src0_sel:DWORD src1_sel:WORD_1
	v_fma_f16 v69, v52, s20, v106
	v_mul_f16_e32 v107, 0x2de8, v77
	s_mov_b32 s27, 0xba62
	v_add_f16_e32 v63, v69, v63
	v_fma_f16 v69, v53, s34, v107
	v_mul_f16_e32 v108, 0xb8d2, v79
	s_movk_i32 s28, 0x35c8
	v_add_f16_e32 v63, v69, v63
	v_fma_f16 v69, v54, s27, v108
	v_mul_f16_e32 v109, 0x3b76, v81
	v_add_f16_e32 v63, v69, v63
	v_fma_f16 v69, v55, s28, v109
	v_mul_f16_e32 v110, 0xbbdd, v83
	;; [unrolled: 3-line block ×13, first 2 shown]
	s_mov_b32 s29, 0xbbb2
	v_add_f16_e32 v69, v70, v69
	v_fma_f16 v70, v51, s31, v121
	v_mul_f16_e32 v122, 0xb461, v75
	v_add_f16_sdwa v70, v70, v23 dst_sel:DWORD dst_unused:UNUSED_PAD src0_sel:DWORD src1_sel:WORD_1
	v_fma_f16 v71, v52, s29, v122
	v_mul_f16_e32 v123, 0x3b76, v77
	v_add_f16_e32 v70, v71, v70
	v_fma_f16 v71, v53, s28, v123
	v_mul_f16_e32 v124, 0xbacd, v79
	v_add_f16_e32 v70, v71, v70
	v_fma_f16 v71, v54, s21, v124
	v_mul_f16_e32 v125, 0x2de8, v81
	s_movk_i32 s33, 0x3964
	v_add_f16_e32 v70, v71, v70
	v_fma_f16 v71, v55, s23, v125
	v_mul_f16_e32 v126, 0x39e9, v83
	v_add_f16_e32 v70, v71, v70
	v_fma_f16 v71, v57, s33, v126
	v_mul_f16_e32 v127, 0xbbdd, v85
	;; [unrolled: 3-line block ×12, first 2 shown]
	s_mov_b32 s24, 0xb836
	v_add_f16_e32 v71, v72, v71
	v_fma_f16 v72, v51, s26, v137
	v_mul_f16_e32 v138, 0xbacd, v75
	v_add_f16_sdwa v72, v72, v23 dst_sel:DWORD dst_unused:UNUSED_PAD src0_sel:DWORD src1_sel:WORD_1
	v_fma_f16 v139, v52, s24, v138
	v_add_f16_e32 v72, v139, v72
	v_mul_f16_e32 v139, 0x39e9, v77
	v_fma_f16 v140, v53, s18, v139
	s_movk_i32 s30, 0x3b29
	v_add_f16_e32 v72, v140, v72
	v_mul_f16_e32 v140, 0x3722, v79
	v_fma_f16 v141, v54, s30, v140
	v_add_f16_e32 v72, v141, v72
	v_mul_f16_e32 v141, 0xbbdd, v81
	v_fma_f16 v142, v55, s25, v141
	;; [unrolled: 3-line block ×6, first 2 shown]
	v_mul_f16_e32 v147, 0x3836, v91
	v_add_f16_e32 v146, v146, v23
	v_fma_f16 v148, v61, s3, v147
	v_add_f16_e32 v146, v148, v146
	v_mul_f16_e32 v148, 0x3964, v93
	v_fma_f16 v149, v62, s14, v148
	v_add_f16_e32 v146, v149, v146
	v_mul_f16_e32 v149, 0xbb29, v95
	;; [unrolled: 3-line block ×3, first 2 shown]
	s_mov_b32 s22, 0xb1e1
	v_fma_f16 v151, v65, s2, v150
	v_add_f16_e32 v146, v151, v146
	v_mul_f16_e32 v151, 0x3bf7, v99
	v_fma_f16 v74, v51, s22, v74
	v_fma_f16 v152, v66, s19, v151
	v_add_f16_sdwa v74, v74, v23 dst_sel:DWORD dst_unused:UNUSED_PAD src0_sel:DWORD src1_sel:WORD_1
	v_fma_f16 v76, v52, s28, v76
	v_add_f16_e32 v146, v152, v146
	v_mul_f16_e32 v152, 0xb5c8, v101
	v_add_f16_e32 v74, v76, v74
	v_fma_f16 v76, v53, s24, v78
	v_fma_f16 v153, v67, s4, v152
	v_add_f16_e32 v74, v76, v74
	v_fma_f16 v76, v54, s33, v80
	v_add_f16_e32 v146, v153, v146
	v_mul_f16_e32 v153, 0xba62, v103
	v_add_f16_e32 v74, v76, v74
	v_fma_f16 v76, v55, s27, v82
	v_fma_f16 v154, v68, s5, v153
	v_add_f16_e32 v74, v76, v74
	v_fma_f16 v76, v57, s30, v84
	v_add_f16_e32 v146, v154, v146
	v_mul_f16_e32 v154, 0x2de8, v73
	v_add_f16_e32 v74, v76, v74
	v_fma_f16 v76, v58, s29, v86
	v_fma_f16 v155, v51, s34, v154
	v_mul_f16_e32 v156, 0xbbdd, v75
	v_add_f16_e32 v74, v76, v74
	v_fma_f16 v76, v59, s34, v88
	v_add_f16_sdwa v155, v155, v23 dst_sel:DWORD dst_unused:UNUSED_PAD src0_sel:DWORD src1_sel:WORD_1
	v_fma_f16 v157, v52, s25, v156
	v_add_f16_e32 v74, v76, v74
	v_fma_f16 v76, v60, s2, -v90
	v_add_f16_e32 v155, v157, v155
	v_mul_f16_e32 v157, 0xb461, v77
	v_add_f16_e32 v76, v76, v23
	v_fma_f16 v78, v61, s4, -v92
	v_fma_f16 v158, v53, s29, v157
	v_add_f16_e32 v76, v78, v76
	v_fma_f16 v78, v62, s3, -v94
	v_add_f16_e32 v155, v158, v155
	v_mul_f16_e32 v158, 0x3b76, v79
	v_add_f16_e32 v76, v78, v76
	v_fma_f16 v78, v64, s14, -v96
	;; [unrolled: 7-line block ×4, first 2 shown]
	v_fma_f16 v161, v57, s21, v160
	v_add_f16_e32 v76, v78, v76
	v_fma_f16 v78, v51, s24, v105
	v_add_f16_e32 v155, v161, v155
	v_mul_f16_e32 v161, 0xb8d2, v85
	v_add_f16_sdwa v78, v78, v23 dst_sel:DWORD dst_unused:UNUSED_PAD src0_sel:DWORD src1_sel:WORD_1
	v_fma_f16 v80, v52, s30, v106
	v_fma_f16 v162, v58, s27, v161
	v_add_f16_e32 v78, v80, v78
	v_fma_f16 v80, v53, s23, v107
	v_add_f16_e32 v155, v162, v155
	v_mul_f16_e32 v162, 0x39e9, v87
	v_add_f16_e32 v78, v80, v78
	v_fma_f16 v80, v54, s31, v108
	v_fma_f16 v163, v59, s18, v162
	v_add_f16_e32 v78, v80, v78
	v_fma_f16 v80, v55, s15, v109
	v_add_f16_e32 v155, v163, v155
	v_mul_f16_e32 v163, 0xbbf7, v89
	v_add_f16_e32 v78, v80, v78
	v_fma_f16 v80, v57, s22, v110
	v_fma_f16 v164, v60, s19, v163
	v_mul_f16_e32 v165, 0xb1e1, v91
	v_add_f16_e32 v78, v80, v78
	v_fma_f16 v80, v58, s33, v111
	v_add_f16_e32 v164, v164, v23
	v_fma_f16 v166, v61, s2, v165
	;; [unrolled: 2-line block ×3, first 2 shown]
	v_add_f16_e32 v164, v166, v164
	v_mul_f16_e32 v166, 0x3bb2, v93
	v_add_f16_e32 v78, v80, v78
	v_fma_f16 v80, v60, s3, -v113
	v_fma_f16 v167, v62, s17, v166
	v_add_f16_e32 v80, v80, v23
	v_fma_f16 v82, v61, s16, -v114
	v_add_f16_e32 v164, v167, v164
	v_mul_f16_e32 v167, 0x35c8, v95
	v_add_f16_e32 v80, v82, v80
	v_fma_f16 v82, v62, s19, -v115
	v_fma_f16 v168, v64, s4, v167
	v_add_f16_e32 v80, v82, v80
	v_fma_f16 v82, v64, s5, -v116
	;; [unrolled: 7-line block ×4, first 2 shown]
	v_add_f16_e32 v164, v170, v164
	v_mul_f16_e32 v170, 0x3a62, v101
	v_add_f16_e32 v80, v82, v80
	v_fma_f16 v82, v51, s27, v121
	v_fma_f16 v171, v67, s5, v170
	v_add_f16_sdwa v82, v82, v23 dst_sel:DWORD dst_unused:UNUSED_PAD src0_sel:DWORD src1_sel:WORD_1
	v_fma_f16 v84, v52, s26, v122
	v_add_f16_e32 v164, v171, v164
	v_mul_f16_e32 v171, 0x3964, v103
	v_add_f16_e32 v82, v84, v82
	v_fma_f16 v84, v53, s15, v123
	v_fma_f16 v172, v68, s14, v171
	v_add_f16_e32 v82, v84, v82
	v_fma_f16 v84, v54, s24, v124
	v_add_f16_e32 v164, v172, v164
	v_mul_f16_e32 v172, 0x3722, v73
	v_add_f16_e32 v82, v84, v82
	v_fma_f16 v84, v55, s34, v125
	v_fma_f16 v173, v51, s30, v172
	v_mul_f16_e32 v174, 0xb8d2, v75
	v_add_f16_e32 v82, v84, v82
	v_fma_f16 v84, v57, s18, v126
	v_add_f16_sdwa v173, v173, v23 dst_sel:DWORD dst_unused:UNUSED_PAD src0_sel:DWORD src1_sel:WORD_1
	v_fma_f16 v175, v52, s31, v174
	v_add_f16_e32 v82, v84, v82
	v_fma_f16 v84, v58, s22, v127
	v_add_f16_e32 v173, v175, v173
	v_mul_f16_e32 v175, 0xbbdd, v77
	v_add_f16_e32 v82, v84, v82
	v_fma_f16 v84, v59, s30, v128
	v_fma_f16 v176, v53, s22, v175
	v_add_f16_e32 v82, v84, v82
	v_fma_f16 v84, v60, s5, -v129
	v_add_f16_e32 v173, v176, v173
	v_mul_f16_e32 v176, 0xb461, v79
	v_add_f16_e32 v84, v84, v23
	v_fma_f16 v86, v61, s17, -v130
	v_fma_f16 v177, v54, s29, v176
	v_add_f16_e32 v84, v86, v84
	v_fma_f16 v86, v62, s4, -v131
	v_add_f16_e32 v173, v177, v173
	v_mul_f16_e32 v177, 0x39e9, v81
	v_add_f16_e32 v84, v86, v84
	v_fma_f16 v86, v64, s3, -v132
	;; [unrolled: 7-line block ×4, first 2 shown]
	v_fma_f16 v180, v58, s34, v179
	v_add_f16_e32 v84, v86, v84
	v_fma_f16 v86, v51, s29, v137
	v_add_f16_e32 v173, v180, v173
	v_mul_f16_e32 v180, 0xbacd, v87
	v_add_f16_sdwa v86, v86, v23 dst_sel:DWORD dst_unused:UNUSED_PAD src0_sel:DWORD src1_sel:WORD_1
	v_fma_f16 v88, v52, s21, v138
	v_fma_f16 v181, v59, s21, v180
	v_add_f16_e32 v86, v88, v86
	v_fma_f16 v88, v53, s33, v139
	v_add_f16_e32 v173, v181, v173
	v_mul_f16_e32 v181, 0xbb29, v89
	v_add_f16_e32 v86, v88, v86
	v_fma_f16 v88, v54, s20, v140
	v_fma_f16 v182, v60, s16, v181
	v_mul_f16_e32 v183, 0xba62, v91
	v_add_f16_e32 v86, v88, v86
	v_fma_f16 v88, v55, s22, v141
	v_add_f16_e32 v182, v182, v23
	v_fma_f16 v184, v61, s5, v183
	;; [unrolled: 2-line block ×3, first 2 shown]
	v_add_f16_e32 v182, v184, v182
	v_mul_f16_e32 v184, 0x31e1, v93
	v_add_f16_e32 v86, v88, v86
	v_fma_f16 v88, v58, s15, v143
	v_fma_f16 v185, v62, s2, v184
	v_add_f16_e32 v86, v88, v86
	v_fma_f16 v88, v59, s27, v144
	v_add_f16_e32 v182, v185, v182
	v_mul_f16_e32 v185, 0x3bb2, v95
	v_add_f16_e32 v86, v88, v86
	v_fma_f16 v88, v60, s17, -v145
	v_fma_f16 v186, v64, s17, v185
	v_add_f16_e32 v88, v88, v23
	v_fma_f16 v90, v61, s3, -v147
	v_add_f16_e32 v182, v186, v182
	v_mul_f16_e32 v186, 0x3964, v97
	v_add_f16_e32 v88, v90, v88
	v_fma_f16 v90, v62, s14, -v148
	v_fma_f16 v187, v65, s14, v186
	v_add_f16_e32 v88, v90, v88
	v_fma_f16 v90, v64, s16, -v149
	;; [unrolled: 7-line block ×4, first 2 shown]
	v_add_f16_e32 v182, v189, v182
	v_mul_f16_e32 v189, 0xb836, v103
	v_add_f16_e32 v88, v90, v88
	v_fma_f16 v90, v51, s23, v154
	v_fma_f16 v190, v68, s3, v189
	v_add_f16_sdwa v90, v90, v23 dst_sel:DWORD dst_unused:UNUSED_PAD src0_sel:DWORD src1_sel:WORD_1
	v_fma_f16 v92, v52, s22, v156
	v_add_f16_e32 v182, v190, v182
	v_mul_f16_e32 v190, 0x39e9, v73
	v_add_f16_e32 v90, v92, v90
	v_fma_f16 v92, v53, s26, v157
	v_fma_f16 v191, v51, s33, v190
	v_mul_f16_e32 v192, 0x2de8, v75
	v_add_f16_e32 v90, v92, v90
	v_fma_f16 v92, v54, s28, v158
	v_add_f16_sdwa v191, v191, v23 dst_sel:DWORD dst_unused:UNUSED_PAD src0_sel:DWORD src1_sel:WORD_1
	v_fma_f16 v193, v52, s34, v192
	v_add_f16_e32 v90, v92, v90
	v_fma_f16 v92, v55, s20, v159
	v_add_f16_e32 v191, v193, v191
	v_mul_f16_e32 v193, 0xb8d2, v77
	v_add_f16_e32 v90, v92, v90
	v_fma_f16 v92, v57, s24, v160
	v_fma_f16 v194, v53, s31, v193
	v_add_f16_e32 v90, v92, v90
	v_fma_f16 v92, v58, s31, v161
	v_add_f16_e32 v191, v194, v191
	v_mul_f16_e32 v194, 0xbbdd, v79
	v_add_f16_e32 v90, v92, v90
	v_fma_f16 v92, v59, s33, v162
	v_fma_f16 v195, v54, s25, v194
	v_add_f16_e32 v90, v92, v90
	v_fma_f16 v92, v60, s19, -v163
	v_add_f16_e32 v191, v195, v191
	v_mul_f16_e32 v195, 0xbacd, v81
	v_add_f16_e32 v92, v92, v23
	v_fma_f16 v94, v61, s2, -v165
	v_fma_f16 v196, v55, s24, v195
	v_add_f16_e32 v92, v94, v92
	v_fma_f16 v94, v62, s17, -v166
	v_add_f16_e32 v191, v196, v191
	v_mul_f16_e32 v196, 0xb461, v83
	v_add_f16_e32 v92, v94, v92
	v_fma_f16 v94, v64, s4, -v167
	v_fma_f16 v197, v57, s29, v196
	v_add_f16_e32 v92, v94, v92
	v_fma_f16 v94, v65, s16, -v168
	v_add_f16_e32 v191, v197, v191
	v_mul_f16_e32 v197, 0x3722, v85
	v_add_f16_e32 v92, v94, v92
	v_fma_f16 v94, v66, s3, -v169
	v_fma_f16 v198, v58, s20, v197
	v_add_f16_e32 v92, v94, v92
	v_fma_f16 v94, v67, s5, -v170
	v_add_f16_e32 v191, v198, v191
	v_mul_f16_e32 v198, 0x3b76, v87
	v_add_f16_e32 v92, v94, v92
	v_fma_f16 v94, v68, s14, -v171
	v_fma_f16 v199, v59, s15, v198
	v_add_f16_e32 v92, v94, v92
	v_fma_f16 v94, v51, s20, v172
	v_add_f16_e32 v191, v199, v191
	v_mul_f16_e32 v199, 0xb964, v89
	v_add_f16_sdwa v94, v94, v23 dst_sel:DWORD dst_unused:UNUSED_PAD src0_sel:DWORD src1_sel:WORD_1
	v_fma_f16 v96, v52, s27, v174
	v_fma_f16 v200, v60, s14, v199
	v_mul_f16_e32 v201, 0xbbf7, v91
	v_add_f16_e32 v94, v96, v94
	v_fma_f16 v96, v53, s25, v175
	v_add_f16_e32 v200, v200, v23
	v_fma_f16 v202, v61, s19, v201
	;; [unrolled: 2-line block ×3, first 2 shown]
	v_add_f16_e32 v200, v202, v200
	v_mul_f16_e32 v202, 0xba62, v93
	v_add_f16_e32 v94, v96, v94
	v_fma_f16 v96, v55, s33, v177
	v_fma_f16 v203, v62, s5, v202
	v_add_f16_e32 v94, v96, v94
	v_fma_f16 v96, v57, s15, v178
	v_add_f16_e32 v200, v203, v200
	v_mul_f16_e32 v203, 0xb1e1, v95
	v_add_f16_e32 v94, v96, v94
	v_fma_f16 v96, v58, s23, v179
	v_fma_f16 v204, v64, s2, v203
	v_add_f16_e32 v94, v96, v94
	v_fma_f16 v96, v59, s24, v180
	v_add_f16_e32 v200, v204, v200
	v_mul_f16_e32 v204, 0x3836, v97
	v_add_f16_e32 v94, v96, v94
	v_fma_f16 v96, v60, s16, -v181
	v_fma_f16 v205, v65, s3, v204
	v_add_f16_e32 v96, v96, v23
	v_fma_f16 v98, v61, s5, -v183
	v_add_f16_e32 v200, v205, v200
	v_mul_f16_e32 v205, 0x3bb2, v99
	v_add_f16_e32 v96, v98, v96
	v_fma_f16 v98, v62, s2, -v184
	v_fma_f16 v206, v66, s17, v205
	v_add_f16_e32 v96, v98, v96
	v_fma_f16 v98, v64, s17, -v185
	;; [unrolled: 7-line block ×3, first 2 shown]
	v_add_f16_e32 v200, v207, v200
	v_mul_f16_e32 v207, 0x35c8, v103
	v_add_f16_e32 v96, v98, v96
	v_fma_f16 v98, v67, s19, -v188
	v_fma_f16 v208, v68, s4, v207
	v_mul_f16_e32 v73, 0x3b76, v73
	v_add_f16_e32 v96, v98, v96
	v_fma_f16 v98, v68, s3, -v189
	v_add_f16_e32 v200, v208, v200
	v_fma_f16 v208, v51, s28, v73
	v_mul_f16_e32 v75, 0x39e9, v75
	v_add_f16_e32 v96, v98, v96
	v_fma_f16 v98, v51, s18, v190
	v_fma_f16 v51, v51, s15, v73
	v_add_f16_sdwa v208, v208, v23 dst_sel:DWORD dst_unused:UNUSED_PAD src0_sel:DWORD src1_sel:WORD_1
	v_fma_f16 v209, v52, s33, v75
	v_mul_f16_e32 v77, 0x3722, v77
	v_add_f16_sdwa v98, v98, v23 dst_sel:DWORD dst_unused:UNUSED_PAD src0_sel:DWORD src1_sel:WORD_1
	v_fma_f16 v100, v52, s23, v192
	v_add_f16_sdwa v51, v51, v23 dst_sel:DWORD dst_unused:UNUSED_PAD src0_sel:DWORD src1_sel:WORD_1
	v_fma_f16 v52, v52, s18, v75
	v_add_f16_e32 v208, v209, v208
	v_fma_f16 v209, v53, s30, v77
	v_mul_f16_e32 v79, 0x2de8, v79
	v_add_f16_e32 v98, v100, v98
	v_fma_f16 v100, v53, s27, v193
	v_add_f16_e32 v51, v52, v51
	v_fma_f16 v52, v53, s20, v77
	v_add_f16_e32 v208, v209, v208
	v_fma_f16 v209, v54, s34, v79
	v_mul_f16_e32 v81, 0xb461, v81
	v_add_f16_e32 v98, v100, v98
	v_fma_f16 v100, v54, s22, v194
	v_add_f16_e32 v51, v52, v51
	;; [unrolled: 7-line block ×6, first 2 shown]
	v_fma_f16 v52, v59, s22, v87
	v_add_f16_e32 v208, v209, v208
	v_fma_f16 v209, v60, s4, v89
	v_add_f16_e32 v98, v100, v98
	v_fma_f16 v100, v60, s14, -v199
	v_add_f16_e32 v51, v52, v51
	v_fma_f16 v52, v60, s4, -v89
	v_add_f16_e32 v209, v209, v23
	v_add_f16_e32 v100, v100, v23
	;; [unrolled: 1-line block ×3, first 2 shown]
	v_add_f16_sdwa v44, v44, v23 dst_sel:DWORD dst_unused:UNUSED_PAD src0_sel:DWORD src1_sel:WORD_1
	v_add_f16_e32 v23, v24, v23
	v_add_f16_e32 v44, v45, v44
	;; [unrolled: 1-line block ×15, first 2 shown]
	v_mul_f16_e32 v91, 0xb964, v91
	v_add_f16_e32 v33, v36, v33
	v_add_f16_e32 v15, v16, v15
	v_fma_f16 v210, v61, s14, v91
	v_mul_f16_e32 v93, 0xbb29, v93
	v_add_f16_e32 v33, v38, v33
	v_add_f16_e32 v13, v13, v15
	v_add_f16_e32 v209, v210, v209
	v_fma_f16 v210, v62, s16, v93
	v_mul_f16_e32 v95, 0xbbf7, v95
	v_add_f16_e32 v33, v40, v33
	;; [unrolled: 5-line block ×6, first 2 shown]
	v_add_f16_e32 v9, v10, v9
	v_add_f16_e32 v209, v210, v209
	v_fma_f16 v210, v68, s2, v103
	v_add_f16_sdwa v33, v34, v33 dst_sel:WORD_1 dst_unused:UNUSED_PAD src0_sel:DWORD src1_sel:DWORD
	v_add_f16_e32 v9, v32, v9
	v_add_f16_e32 v209, v210, v209
	v_fma_f16 v102, v61, s19, -v201
	v_fma_f16 v53, v61, s14, -v91
	v_or_b32_e32 v9, v33, v9
	v_lshlrev_b32_e32 v10, 2, v31
	v_add_f16_e32 v100, v102, v100
	v_fma_f16 v102, v62, s5, -v202
	v_add_f16_e32 v52, v53, v52
	v_fma_f16 v53, v62, s16, -v93
	ds_write_b32 v10, v9
	v_pack_b32_f16 v9, v200, v191
	v_pack_b32_f16 v11, v209, v208
	v_add_f16_e32 v100, v102, v100
	v_fma_f16 v102, v64, s2, -v203
	v_add_f16_e32 v52, v53, v52
	v_fma_f16 v53, v64, s19, -v95
	ds_write2_b32 v10, v11, v9 offset0:1 offset1:2
	v_pack_b32_f16 v9, v164, v155
	v_pack_b32_f16 v11, v182, v173
	v_add_f16_e32 v100, v102, v100
	v_fma_f16 v102, v65, s3, -v204
	v_add_f16_e32 v52, v53, v52
	v_fma_f16 v53, v65, s17, -v97
	ds_write2_b32 v10, v11, v9 offset0:3 offset1:4
	;; [unrolled: 7-line block ×5, first 2 shown]
	v_pack_b32_f16 v9, v88, v86
	v_pack_b32_f16 v11, v84, v82
	v_add_f16_e32 v100, v102, v100
	v_add_f16_e32 v52, v53, v52
	ds_write2_b32 v10, v11, v9 offset0:11 offset1:12
	v_pack_b32_f16 v9, v96, v94
	v_pack_b32_f16 v11, v92, v90
	ds_write2_b32 v10, v11, v9 offset0:13 offset1:14
	v_pack_b32_f16 v9, v52, v51
	v_pack_b32_f16 v11, v100, v98
	ds_write2_b32 v10, v11, v9 offset0:15 offset1:16
.LBB0_13:
	s_or_b64 exec, exec, s[0:1]
	s_waitcnt lgkmcnt(0)
	s_barrier
	ds_read2_b32 v[10:11], v29 offset1:119
	v_add_u32_e32 v9, 0x200, v29
	ds_read2_b32 v[12:13], v9 offset0:110 offset1:229
	v_add_u32_e32 v16, 0x600, v29
	ds_read2_b32 v[14:15], v16 offset0:92 offset1:211
	s_waitcnt lgkmcnt(2)
	v_lshrrev_b32_e32 v17, 16, v11
	v_mul_f16_sdwa v28, v0, v17 dst_sel:DWORD dst_unused:UNUSED_PAD src0_sel:WORD_1 src1_sel:DWORD
	s_waitcnt lgkmcnt(1)
	v_lshrrev_b32_e32 v23, 16, v12
	v_fma_f16 v28, v0, v11, v28
	v_mul_f16_sdwa v11, v0, v11 dst_sel:DWORD dst_unused:UNUSED_PAD src0_sel:WORD_1 src1_sel:DWORD
	ds_read_b32 v18, v29 offset:2856
	v_fma_f16 v0, v0, v17, -v11
	v_mul_f16_sdwa v11, v1, v23 dst_sel:DWORD dst_unused:UNUSED_PAD src0_sel:WORD_1 src1_sel:DWORD
	v_lshrrev_b32_e32 v24, 16, v13
	v_fma_f16 v11, v1, v12, v11
	v_mul_f16_sdwa v12, v1, v12 dst_sel:DWORD dst_unused:UNUSED_PAD src0_sel:WORD_1 src1_sel:DWORD
	v_fma_f16 v1, v1, v23, -v12
	v_mul_f16_sdwa v12, v2, v24 dst_sel:DWORD dst_unused:UNUSED_PAD src0_sel:WORD_1 src1_sel:DWORD
	s_waitcnt lgkmcnt(1)
	v_lshrrev_b32_e32 v25, 16, v14
	v_fma_f16 v12, v2, v13, v12
	v_mul_f16_sdwa v13, v2, v13 dst_sel:DWORD dst_unused:UNUSED_PAD src0_sel:WORD_1 src1_sel:DWORD
	v_fma_f16 v2, v2, v24, -v13
	v_mul_f16_sdwa v13, v3, v25 dst_sel:DWORD dst_unused:UNUSED_PAD src0_sel:WORD_1 src1_sel:DWORD
	v_lshrrev_b32_e32 v26, 16, v15
	s_waitcnt lgkmcnt(0)
	v_lshrrev_b32_e32 v27, 16, v18
	v_fma_f16 v13, v3, v14, v13
	v_mul_f16_sdwa v14, v3, v14 dst_sel:DWORD dst_unused:UNUSED_PAD src0_sel:WORD_1 src1_sel:DWORD
	v_fma_f16 v3, v3, v25, -v14
	v_mul_f16_sdwa v14, v19, v26 dst_sel:DWORD dst_unused:UNUSED_PAD src0_sel:WORD_1 src1_sel:DWORD
	v_mul_f16_sdwa v17, v20, v27 dst_sel:DWORD dst_unused:UNUSED_PAD src0_sel:WORD_1 src1_sel:DWORD
	v_fma_f16 v14, v19, v15, v14
	v_mul_f16_sdwa v15, v19, v15 dst_sel:DWORD dst_unused:UNUSED_PAD src0_sel:WORD_1 src1_sel:DWORD
	v_fma_f16 v17, v20, v18, v17
	v_mul_f16_sdwa v18, v20, v18 dst_sel:DWORD dst_unused:UNUSED_PAD src0_sel:WORD_1 src1_sel:DWORD
	v_fma_f16 v15, v19, v26, -v15
	v_fma_f16 v18, v20, v27, -v18
	v_add_f16_e32 v19, v28, v17
	v_add_f16_e32 v20, v0, v18
	v_sub_f16_e32 v0, v0, v18
	v_add_f16_e32 v18, v11, v14
	v_add_f16_e32 v23, v1, v15
	v_sub_f16_e32 v11, v11, v14
	v_sub_f16_e32 v1, v1, v15
	v_add_f16_e32 v14, v12, v13
	v_add_f16_e32 v15, v2, v3
	v_sub_f16_e32 v12, v13, v12
	v_sub_f16_e32 v2, v3, v2
	v_add_f16_e32 v3, v18, v19
	v_add_f16_e32 v13, v23, v20
	v_sub_f16_e32 v17, v28, v17
	v_add_f16_e32 v3, v14, v3
	v_add_f16_e32 v13, v15, v13
	v_sub_f16_e32 v24, v18, v19
	v_sub_f16_e32 v25, v23, v20
	v_sub_f16_e32 v19, v19, v14
	v_sub_f16_e32 v20, v20, v15
	v_sub_f16_e32 v18, v14, v18
	v_sub_f16_e32 v23, v15, v23
	v_add_f16_e32 v26, v12, v11
	v_add_f16_e32 v27, v2, v1
	v_sub_f16_e32 v28, v12, v11
	v_sub_f16_e32 v31, v2, v1
	;; [unrolled: 1-line block ×4, first 2 shown]
	v_add_f16_e32 v15, v3, v10
	v_add_f16_sdwa v10, v13, v10 dst_sel:DWORD dst_unused:UNUSED_PAD src0_sel:DWORD src1_sel:WORD_1
	v_sub_f16_e32 v12, v17, v12
	v_sub_f16_e32 v2, v0, v2
	v_add_f16_e32 v14, v26, v17
	v_add_f16_e32 v0, v27, v0
	v_lshlrev_b32_e32 v17, 16, v10
	v_mul_f16_e32 v19, 0x3a52, v19
	v_mul_f16_e32 v20, 0x3a52, v20
	s_movk_i32 s0, 0x2b26
	v_mul_f16_e32 v26, 0x2b26, v18
	v_mul_f16_e32 v27, 0x2b26, v23
	;; [unrolled: 1-line block ×4, first 2 shown]
	s_mov_b32 s1, 0xbb00
	v_mul_f16_e32 v32, 0xbb00, v11
	v_mul_f16_e32 v33, 0xbb00, v1
	s_mov_b32 s2, 0xbcab
	s_movk_i32 s3, 0x39e0
	s_mov_b32 s4, 0xb9e0
	s_mov_b32 s5, 0xb574
	s_movk_i32 s14, 0x3574
	v_or_b32_e32 v17, v17, v15
	v_fma_f16 v3, v3, s2, v15
	v_fma_f16 v10, v13, s2, v10
	;; [unrolled: 1-line block ×4, first 2 shown]
	v_fma_f16 v18, v24, s3, -v26
	v_fma_f16 v23, v25, s3, -v27
	;; [unrolled: 1-line block ×4, first 2 shown]
	v_fma_f16 v24, v12, s5, v28
	v_fma_f16 v25, v2, s5, v31
	v_fma_f16 v11, v11, s1, -v28
	v_fma_f16 v1, v1, s1, -v31
	;; [unrolled: 1-line block ×4, first 2 shown]
	s_mov_b32 s15, 0xb70e
	v_add_f16_e32 v13, v13, v3
	v_add_f16_e32 v15, v15, v10
	;; [unrolled: 1-line block ×6, first 2 shown]
	v_fma_f16 v19, v14, s15, v24
	v_fma_f16 v20, v0, s15, v25
	;; [unrolled: 1-line block ×6, first 2 shown]
	v_add_f16_e32 v2, v20, v13
	v_sub_f16_e32 v14, v15, v19
	v_add_f16_e32 v24, v0, v3
	v_sub_f16_e32 v26, v18, v1
	v_add_f16_e32 v27, v11, v23
	v_add_f16_e32 v1, v1, v18
	v_sub_f16_e32 v11, v23, v11
	v_sub_f16_e32 v0, v3, v0
	v_add_f16_e32 v3, v12, v10
	v_sub_f16_e32 v25, v10, v12
	v_sub_f16_e32 v10, v13, v20
	v_add_f16_e32 v12, v19, v15
	v_pack_b32_f16 v2, v2, v14
	v_pack_b32_f16 v1, v1, v11
	;; [unrolled: 1-line block ×3, first 2 shown]
	s_barrier
	ds_write2_b32 v43, v17, v2 offset1:17
	v_pack_b32_f16 v2, v24, v25
	v_pack_b32_f16 v13, v26, v27
	ds_write2_b32 v43, v1, v0 offset0:68 offset1:85
	v_pack_b32_f16 v0, v10, v12
	ds_write2_b32 v43, v2, v13 offset0:34 offset1:51
	ds_write_b32 v43, v0 offset:408
	s_waitcnt lgkmcnt(0)
	s_barrier
	ds_read2_b32 v[0:1], v29 offset1:119
	ds_read2_b32 v[2:3], v9 offset0:110 offset1:229
	ds_read2_b32 v[10:11], v16 offset0:92 offset1:211
	ds_read_b32 v13, v29 offset:2856
	s_waitcnt lgkmcnt(3)
	v_lshrrev_b32_e32 v12, 16, v1
	v_mul_f16_sdwa v20, v4, v12 dst_sel:DWORD dst_unused:UNUSED_PAD src0_sel:WORD_1 src1_sel:DWORD
	s_waitcnt lgkmcnt(2)
	v_lshrrev_b32_e32 v14, 16, v2
	v_fma_f16 v20, v4, v1, v20
	v_mul_f16_sdwa v1, v4, v1 dst_sel:DWORD dst_unused:UNUSED_PAD src0_sel:WORD_1 src1_sel:DWORD
	v_fma_f16 v1, v4, v12, -v1
	v_mul_f16_sdwa v4, v5, v14 dst_sel:DWORD dst_unused:UNUSED_PAD src0_sel:WORD_1 src1_sel:DWORD
	v_lshrrev_b32_e32 v15, 16, v3
	v_fma_f16 v4, v5, v2, v4
	v_mul_f16_sdwa v2, v5, v2 dst_sel:DWORD dst_unused:UNUSED_PAD src0_sel:WORD_1 src1_sel:DWORD
	v_fma_f16 v2, v5, v14, -v2
	v_mul_f16_sdwa v5, v6, v15 dst_sel:DWORD dst_unused:UNUSED_PAD src0_sel:WORD_1 src1_sel:DWORD
	s_waitcnt lgkmcnt(1)
	v_lshrrev_b32_e32 v17, 16, v10
	v_fma_f16 v5, v6, v3, v5
	v_mul_f16_sdwa v3, v6, v3 dst_sel:DWORD dst_unused:UNUSED_PAD src0_sel:WORD_1 src1_sel:DWORD
	v_fma_f16 v3, v6, v15, -v3
	v_mul_f16_sdwa v6, v7, v17 dst_sel:DWORD dst_unused:UNUSED_PAD src0_sel:WORD_1 src1_sel:DWORD
	v_lshrrev_b32_e32 v18, 16, v11
	s_waitcnt lgkmcnt(0)
	v_lshrrev_b32_e32 v19, 16, v13
	v_fma_f16 v6, v7, v10, v6
	v_mul_f16_sdwa v10, v7, v10 dst_sel:DWORD dst_unused:UNUSED_PAD src0_sel:WORD_1 src1_sel:DWORD
	v_fma_f16 v7, v7, v17, -v10
	v_mul_f16_sdwa v10, v21, v18 dst_sel:DWORD dst_unused:UNUSED_PAD src0_sel:WORD_1 src1_sel:DWORD
	v_mul_f16_sdwa v12, v22, v19 dst_sel:DWORD dst_unused:UNUSED_PAD src0_sel:WORD_1 src1_sel:DWORD
	v_fma_f16 v10, v21, v11, v10
	v_mul_f16_sdwa v11, v21, v11 dst_sel:DWORD dst_unused:UNUSED_PAD src0_sel:WORD_1 src1_sel:DWORD
	v_fma_f16 v12, v22, v13, v12
	v_mul_f16_sdwa v13, v22, v13 dst_sel:DWORD dst_unused:UNUSED_PAD src0_sel:WORD_1 src1_sel:DWORD
	v_fma_f16 v11, v21, v18, -v11
	v_fma_f16 v13, v22, v19, -v13
	v_add_f16_e32 v14, v20, v12
	v_add_f16_e32 v15, v1, v13
	v_sub_f16_e32 v1, v1, v13
	v_add_f16_e32 v13, v4, v10
	v_add_f16_e32 v17, v2, v11
	v_sub_f16_e32 v4, v4, v10
	v_sub_f16_e32 v2, v2, v11
	v_add_f16_e32 v10, v5, v6
	v_add_f16_e32 v11, v3, v7
	v_sub_f16_e32 v5, v6, v5
	;; [unrolled: 4-line block ×3, first 2 shown]
	v_add_f16_e32 v6, v10, v6
	v_add_f16_e32 v7, v11, v7
	v_sub_f16_e32 v18, v13, v14
	v_sub_f16_e32 v19, v17, v15
	;; [unrolled: 1-line block ×6, first 2 shown]
	v_add_f16_e32 v20, v5, v4
	v_add_f16_e32 v21, v3, v2
	v_sub_f16_e32 v22, v5, v4
	v_sub_f16_e32 v23, v3, v2
	;; [unrolled: 1-line block ×4, first 2 shown]
	v_add_f16_e32 v11, v6, v0
	v_add_f16_sdwa v0, v7, v0 dst_sel:DWORD dst_unused:UNUSED_PAD src0_sel:DWORD src1_sel:WORD_1
	v_sub_f16_e32 v5, v12, v5
	v_sub_f16_e32 v3, v1, v3
	v_add_f16_e32 v10, v20, v12
	v_add_f16_e32 v1, v21, v1
	v_lshlrev_b32_e32 v12, 16, v0
	v_mul_f16_e32 v14, 0x3a52, v14
	v_mul_f16_e32 v15, 0x3a52, v15
	;; [unrolled: 1-line block ×8, first 2 shown]
	v_or_b32_e32 v12, v12, v11
	v_fma_f16 v6, v6, s2, v11
	v_fma_f16 v0, v7, s2, v0
	;; [unrolled: 1-line block ×4, first 2 shown]
	v_fma_f16 v13, v18, s3, -v20
	v_fma_f16 v17, v19, s3, -v21
	;; [unrolled: 1-line block ×4, first 2 shown]
	v_fma_f16 v18, v5, s5, v22
	v_fma_f16 v19, v3, s5, v23
	v_fma_f16 v4, v4, s1, -v22
	v_fma_f16 v2, v2, s1, -v23
	;; [unrolled: 1-line block ×4, first 2 shown]
	v_add_f16_e32 v7, v7, v6
	v_add_f16_e32 v11, v11, v0
	;; [unrolled: 1-line block ×6, first 2 shown]
	v_fma_f16 v14, v10, s15, v18
	v_fma_f16 v15, v1, s15, v19
	;; [unrolled: 1-line block ×6, first 2 shown]
	v_add_f16_e32 v3, v15, v7
	v_sub_f16_e32 v10, v11, v14
	v_add_f16_e32 v18, v1, v6
	v_sub_f16_e32 v19, v0, v5
	v_sub_f16_e32 v20, v13, v2
	v_add_f16_e32 v21, v4, v17
	v_add_f16_e32 v2, v2, v13
	v_sub_f16_e32 v4, v17, v4
	v_sub_f16_e32 v1, v6, v1
	v_add_f16_e32 v0, v5, v0
	v_sub_f16_e32 v5, v7, v15
	v_add_f16_e32 v6, v14, v11
	v_pack_b32_f16 v3, v3, v10
	v_pack_b32_f16 v2, v2, v4
	;; [unrolled: 1-line block ×3, first 2 shown]
	ds_write2_b32 v29, v12, v3 offset1:119
	v_pack_b32_f16 v3, v18, v19
	v_pack_b32_f16 v7, v20, v21
	ds_write2_b32 v16, v2, v0 offset0:92 offset1:211
	v_pack_b32_f16 v0, v5, v6
	ds_write2_b32 v9, v3, v7 offset0:110 offset1:229
	ds_write_b32 v29, v0 offset:2856
	s_waitcnt lgkmcnt(0)
	s_barrier
	s_and_b64 exec, exec, vcc
	s_cbranch_execz .LBB0_15
; %bb.14:
	global_load_dword v10, v29, s[6:7]
	ds_read_b32 v11, v29
	v_mad_u64_u32 v[1:2], s[0:1], s10, v8, 0
	v_mad_u64_u32 v[3:4], s[0:1], s8, v30, 0
	s_mov_b32 s14, 0xca869b81
	s_mov_b32 s15, 0x3f53ab2d
	v_mad_u64_u32 v[5:6], s[0:1], s11, v8, v[2:3]
	v_mov_b32_e32 v12, s13
	s_movk_i32 s16, 0x1ff
	v_mad_u64_u32 v[6:7], s[0:1], s9, v30, v[4:5]
	s_waitcnt lgkmcnt(0)
	v_lshrrev_b32_e32 v7, 16, v11
	v_mov_b32_e32 v2, v5
	v_mov_b32_e32 v4, v6
	v_lshlrev_b64 v[1:2], 2, v[1:2]
	v_lshlrev_b64 v[3:4], 2, v[3:4]
	s_movk_i32 s10, 0xffe
	v_mov_b32_e32 v0, 0x7c00
	s_movk_i32 s18, 0x40f
	s_mov_b32 s17, 0x8000
	s_waitcnt vmcnt(0)
	v_mul_f16_sdwa v5, v7, v10 dst_sel:DWORD dst_unused:UNUSED_PAD src0_sel:DWORD src1_sel:WORD_1
	v_fma_f16 v5, v11, v10, v5
	v_mul_f16_sdwa v6, v11, v10 dst_sel:DWORD dst_unused:UNUSED_PAD src0_sel:DWORD src1_sel:WORD_1
	v_cvt_f32_f16_e32 v5, v5
	v_fma_f16 v6, v10, v7, -v6
	v_cvt_f32_f16_e32 v7, v6
	v_add_co_u32_e32 v10, vcc, s12, v1
	v_cvt_f64_f32_e32 v[5:6], v5
	v_cvt_f64_f32_e32 v[7:8], v7
	v_addc_co_u32_e32 v11, vcc, v12, v2, vcc
	v_mul_f64 v[5:6], v[5:6], s[14:15]
	v_mul_f64 v[1:2], v[7:8], s[14:15]
	v_add_co_u32_e32 v3, vcc, v10, v3
	v_addc_co_u32_e32 v4, vcc, v11, v4, vcc
	v_and_or_b32 v5, v6, s16, v5
	v_and_or_b32 v1, v2, s16, v1
	v_cmp_ne_u32_e32 vcc, 0, v5
	v_lshrrev_b32_e32 v7, 8, v6
	v_bfe_u32 v8, v6, 20, 11
	v_cndmask_b32_e64 v5, 0, 1, vcc
	v_cmp_ne_u32_e32 vcc, 0, v1
	v_lshrrev_b32_e32 v10, 8, v2
	v_bfe_u32 v11, v2, 20, 11
	v_sub_u32_e32 v12, 0x3f1, v8
	v_cndmask_b32_e64 v1, 0, 1, vcc
	v_and_or_b32 v5, v7, s10, v5
	v_sub_u32_e32 v13, 0x3f1, v11
	v_med3_i32 v7, v12, 0, 13
	v_and_or_b32 v1, v10, s10, v1
	v_or_b32_e32 v12, 0x1000, v5
	v_add_u32_e32 v8, 0xfffffc10, v8
	v_med3_i32 v10, v13, 0, 13
	v_cmp_ne_u32_e32 vcc, 0, v5
	v_or_b32_e32 v14, 0x1000, v1
	v_lshrrev_b32_e32 v16, v7, v12
	v_add_u32_e32 v11, 0xfffffc10, v11
	v_lshl_or_b32 v13, v8, 12, v5
	v_cndmask_b32_e64 v5, 0, 1, vcc
	v_cmp_ne_u32_e32 vcc, 0, v1
	v_lshrrev_b32_e32 v17, v10, v14
	v_lshlrev_b32_e32 v7, v7, v16
	v_lshl_or_b32 v15, v11, 12, v1
	v_cndmask_b32_e64 v1, 0, 1, vcc
	v_lshlrev_b32_e32 v10, v10, v17
	v_cmp_ne_u32_e32 vcc, v7, v12
	v_cndmask_b32_e64 v7, 0, 1, vcc
	v_cmp_ne_u32_e32 vcc, v10, v14
	v_cndmask_b32_e64 v10, 0, 1, vcc
	v_or_b32_e32 v7, v16, v7
	v_cmp_gt_i32_e32 vcc, 1, v8
	v_cndmask_b32_e32 v7, v13, v7, vcc
	v_or_b32_e32 v10, v17, v10
	v_cmp_gt_i32_e32 vcc, 1, v11
	v_and_b32_e32 v12, 7, v7
	v_cndmask_b32_e32 v10, v15, v10, vcc
	v_cmp_lt_i32_e32 vcc, 5, v12
	v_cmp_eq_u32_e64 s[0:1], 3, v12
	v_lshrrev_b32_e32 v7, 2, v7
	v_and_b32_e32 v13, 7, v10
	s_or_b64 vcc, s[0:1], vcc
	v_cmp_lt_i32_e64 s[2:3], 5, v13
	v_cmp_eq_u32_e64 s[4:5], 3, v13
	v_addc_co_u32_e32 v7, vcc, 0, v7, vcc
	v_lshrrev_b32_e32 v10, 2, v10
	s_or_b64 vcc, s[4:5], s[2:3]
	v_addc_co_u32_e32 v10, vcc, 0, v10, vcc
	v_cmp_gt_i32_e32 vcc, 31, v8
	v_cndmask_b32_e32 v7, v0, v7, vcc
	v_cmp_gt_i32_e32 vcc, 31, v11
	v_lshl_or_b32 v5, v5, 9, v0
	v_cndmask_b32_e32 v10, v0, v10, vcc
	v_cmp_eq_u32_e32 vcc, s18, v8
	v_lshrrev_b32_e32 v6, 16, v6
	v_lshl_or_b32 v1, v1, 9, v0
	v_cndmask_b32_e32 v5, v7, v5, vcc
	v_cmp_eq_u32_e32 vcc, s18, v11
	v_lshrrev_b32_e32 v2, 16, v2
	v_cndmask_b32_e32 v1, v10, v1, vcc
	v_and_or_b32 v5, v6, s17, v5
	v_and_or_b32 v1, v2, s17, v1
	v_and_b32_e32 v2, 0xffff, v5
	v_lshl_or_b32 v1, v1, 16, v2
	global_store_dword v[3:4], v1, off
	global_load_dword v5, v29, s[6:7] offset:196
	ds_read2_b32 v[1:2], v29 offset0:49 offset1:98
	s_mul_i32 s0, s9, 0xc4
	s_mul_hi_u32 s9, s8, 0xc4
	s_mulk_i32 s8, 0xc4
	s_add_i32 s9, s9, s0
	s_waitcnt lgkmcnt(0)
	v_lshrrev_b32_e32 v6, 16, v1
	v_add_co_u32_e32 v3, vcc, s8, v3
	s_waitcnt vmcnt(0)
	v_mul_f16_sdwa v7, v6, v5 dst_sel:DWORD dst_unused:UNUSED_PAD src0_sel:DWORD src1_sel:WORD_1
	v_fma_f16 v7, v1, v5, v7
	v_mul_f16_sdwa v1, v1, v5 dst_sel:DWORD dst_unused:UNUSED_PAD src0_sel:DWORD src1_sel:WORD_1
	v_cvt_f32_f16_e32 v7, v7
	v_fma_f16 v1, v5, v6, -v1
	v_cvt_f32_f16_e32 v1, v1
	v_cvt_f64_f32_e32 v[5:6], v7
	v_cvt_f64_f32_e32 v[7:8], v1
	v_mov_b32_e32 v1, s9
	v_mul_f64 v[5:6], v[5:6], s[14:15]
	v_addc_co_u32_e32 v4, vcc, v4, v1, vcc
	v_mul_f64 v[7:8], v[7:8], s[14:15]
	v_and_or_b32 v1, v6, s16, v5
	v_cmp_ne_u32_e32 vcc, 0, v1
	v_lshrrev_b32_e32 v5, 8, v6
	v_and_or_b32 v7, v8, s16, v7
	v_bfe_u32 v10, v6, 20, 11
	v_cndmask_b32_e64 v1, 0, 1, vcc
	v_cmp_ne_u32_e32 vcc, 0, v7
	v_lshrrev_b32_e32 v11, 8, v8
	v_bfe_u32 v12, v8, 20, 11
	v_sub_u32_e32 v13, 0x3f1, v10
	v_cndmask_b32_e64 v7, 0, 1, vcc
	v_and_or_b32 v1, v5, s10, v1
	v_sub_u32_e32 v14, 0x3f1, v12
	v_med3_i32 v5, v13, 0, 13
	v_and_or_b32 v7, v11, s10, v7
	v_or_b32_e32 v13, 0x1000, v1
	v_add_u32_e32 v10, 0xfffffc10, v10
	v_med3_i32 v11, v14, 0, 13
	v_cmp_ne_u32_e32 vcc, 0, v1
	v_or_b32_e32 v15, 0x1000, v7
	v_lshrrev_b32_e32 v17, v5, v13
	v_add_u32_e32 v12, 0xfffffc10, v12
	v_lshl_or_b32 v14, v10, 12, v1
	v_cndmask_b32_e64 v1, 0, 1, vcc
	v_cmp_ne_u32_e32 vcc, 0, v7
	v_lshrrev_b32_e32 v18, v11, v15
	v_lshlrev_b32_e32 v5, v5, v17
	v_lshl_or_b32 v16, v12, 12, v7
	v_cndmask_b32_e64 v7, 0, 1, vcc
	v_lshlrev_b32_e32 v11, v11, v18
	v_cmp_ne_u32_e32 vcc, v5, v13
	v_cndmask_b32_e64 v5, 0, 1, vcc
	v_cmp_ne_u32_e32 vcc, v11, v15
	v_cndmask_b32_e64 v11, 0, 1, vcc
	v_or_b32_e32 v5, v17, v5
	v_cmp_gt_i32_e32 vcc, 1, v10
	v_cndmask_b32_e32 v5, v14, v5, vcc
	v_or_b32_e32 v11, v18, v11
	v_cmp_gt_i32_e32 vcc, 1, v12
	v_and_b32_e32 v13, 7, v5
	v_cndmask_b32_e32 v11, v16, v11, vcc
	v_cmp_lt_i32_e32 vcc, 5, v13
	v_cmp_eq_u32_e64 s[0:1], 3, v13
	v_lshrrev_b32_e32 v5, 2, v5
	v_and_b32_e32 v14, 7, v11
	s_or_b64 vcc, s[0:1], vcc
	v_cmp_lt_i32_e64 s[2:3], 5, v14
	v_cmp_eq_u32_e64 s[4:5], 3, v14
	v_addc_co_u32_e32 v5, vcc, 0, v5, vcc
	v_lshrrev_b32_e32 v11, 2, v11
	s_or_b64 vcc, s[4:5], s[2:3]
	v_addc_co_u32_e32 v11, vcc, 0, v11, vcc
	v_cmp_gt_i32_e32 vcc, 31, v10
	v_cndmask_b32_e32 v5, v0, v5, vcc
	v_cmp_gt_i32_e32 vcc, 31, v12
	v_lshl_or_b32 v1, v1, 9, v0
	v_cndmask_b32_e32 v11, v0, v11, vcc
	v_cmp_eq_u32_e32 vcc, s18, v10
	v_lshrrev_b32_e32 v6, 16, v6
	v_lshl_or_b32 v7, v7, 9, v0
	v_cndmask_b32_e32 v1, v5, v1, vcc
	v_cmp_eq_u32_e32 vcc, s18, v12
	v_lshrrev_b32_e32 v8, 16, v8
	v_cndmask_b32_e32 v5, v11, v7, vcc
	v_and_or_b32 v1, v6, s17, v1
	v_and_or_b32 v5, v8, s17, v5
	v_and_b32_e32 v1, 0xffff, v1
	v_lshl_or_b32 v1, v5, 16, v1
	global_store_dword v[3:4], v1, off
	global_load_dword v1, v29, s[6:7] offset:392
	v_lshrrev_b32_e32 v5, 16, v2
	v_mov_b32_e32 v7, s9
	v_add_co_u32_e32 v3, vcc, s8, v3
	v_addc_co_u32_e32 v4, vcc, v4, v7, vcc
	s_waitcnt vmcnt(0)
	v_mul_f16_sdwa v6, v5, v1 dst_sel:DWORD dst_unused:UNUSED_PAD src0_sel:DWORD src1_sel:WORD_1
	v_fma_f16 v6, v2, v1, v6
	v_mul_f16_sdwa v2, v2, v1 dst_sel:DWORD dst_unused:UNUSED_PAD src0_sel:DWORD src1_sel:WORD_1
	v_cvt_f32_f16_e32 v6, v6
	v_fma_f16 v1, v1, v5, -v2
	v_cvt_f32_f16_e32 v5, v1
	v_cvt_f64_f32_e32 v[1:2], v6
	v_cvt_f64_f32_e32 v[5:6], v5
	v_mul_f64 v[1:2], v[1:2], s[14:15]
	v_mul_f64 v[5:6], v[5:6], s[14:15]
	v_and_or_b32 v1, v2, s16, v1
	v_cmp_ne_u32_e32 vcc, 0, v1
	v_and_or_b32 v5, v6, s16, v5
	v_lshrrev_b32_e32 v7, 8, v2
	v_bfe_u32 v8, v2, 20, 11
	v_cndmask_b32_e64 v1, 0, 1, vcc
	v_cmp_ne_u32_e32 vcc, 0, v5
	v_lshrrev_b32_e32 v10, 8, v6
	v_bfe_u32 v11, v6, 20, 11
	v_sub_u32_e32 v12, 0x3f1, v8
	v_cndmask_b32_e64 v5, 0, 1, vcc
	v_and_or_b32 v1, v7, s10, v1
	v_sub_u32_e32 v13, 0x3f1, v11
	v_med3_i32 v7, v12, 0, 13
	v_and_or_b32 v5, v10, s10, v5
	v_or_b32_e32 v12, 0x1000, v1
	v_add_u32_e32 v8, 0xfffffc10, v8
	v_med3_i32 v10, v13, 0, 13
	v_cmp_ne_u32_e32 vcc, 0, v1
	v_or_b32_e32 v14, 0x1000, v5
	v_lshrrev_b32_e32 v16, v7, v12
	v_add_u32_e32 v11, 0xfffffc10, v11
	v_lshl_or_b32 v13, v8, 12, v1
	v_cndmask_b32_e64 v1, 0, 1, vcc
	v_cmp_ne_u32_e32 vcc, 0, v5
	v_lshrrev_b32_e32 v17, v10, v14
	v_lshlrev_b32_e32 v7, v7, v16
	v_lshl_or_b32 v15, v11, 12, v5
	v_cndmask_b32_e64 v5, 0, 1, vcc
	v_lshlrev_b32_e32 v10, v10, v17
	v_cmp_ne_u32_e32 vcc, v7, v12
	v_cndmask_b32_e64 v7, 0, 1, vcc
	v_cmp_ne_u32_e32 vcc, v10, v14
	v_cndmask_b32_e64 v10, 0, 1, vcc
	v_or_b32_e32 v7, v16, v7
	v_cmp_gt_i32_e32 vcc, 1, v8
	v_cndmask_b32_e32 v7, v13, v7, vcc
	v_or_b32_e32 v10, v17, v10
	v_cmp_gt_i32_e32 vcc, 1, v11
	v_and_b32_e32 v12, 7, v7
	v_cndmask_b32_e32 v10, v15, v10, vcc
	v_cmp_lt_i32_e32 vcc, 5, v12
	v_cmp_eq_u32_e64 s[0:1], 3, v12
	v_lshrrev_b32_e32 v7, 2, v7
	v_and_b32_e32 v13, 7, v10
	s_or_b64 vcc, s[0:1], vcc
	v_cmp_lt_i32_e64 s[2:3], 5, v13
	v_cmp_eq_u32_e64 s[4:5], 3, v13
	v_addc_co_u32_e32 v7, vcc, 0, v7, vcc
	v_lshrrev_b32_e32 v10, 2, v10
	s_or_b64 vcc, s[4:5], s[2:3]
	v_addc_co_u32_e32 v10, vcc, 0, v10, vcc
	v_cmp_gt_i32_e32 vcc, 31, v8
	v_cndmask_b32_e32 v7, v0, v7, vcc
	v_cmp_gt_i32_e32 vcc, 31, v11
	v_lshl_or_b32 v1, v1, 9, v0
	v_cndmask_b32_e32 v10, v0, v10, vcc
	v_cmp_eq_u32_e32 vcc, s18, v8
	v_lshrrev_b32_e32 v2, 16, v2
	v_lshl_or_b32 v5, v5, 9, v0
	v_cndmask_b32_e32 v1, v7, v1, vcc
	v_cmp_eq_u32_e32 vcc, s18, v11
	v_lshrrev_b32_e32 v6, 16, v6
	v_cndmask_b32_e32 v5, v10, v5, vcc
	v_and_or_b32 v1, v2, s17, v1
	v_and_or_b32 v2, v6, s17, v5
	v_and_b32_e32 v1, 0xffff, v1
	v_lshl_or_b32 v1, v2, 16, v1
	global_store_dword v[3:4], v1, off
	global_load_dword v5, v29, s[6:7] offset:588
	ds_read2_b32 v[1:2], v29 offset0:147 offset1:196
	v_add_co_u32_e32 v3, vcc, s8, v3
	s_waitcnt lgkmcnt(0)
	v_lshrrev_b32_e32 v6, 16, v1
	s_waitcnt vmcnt(0)
	v_mul_f16_sdwa v7, v6, v5 dst_sel:DWORD dst_unused:UNUSED_PAD src0_sel:DWORD src1_sel:WORD_1
	v_fma_f16 v7, v1, v5, v7
	v_mul_f16_sdwa v1, v1, v5 dst_sel:DWORD dst_unused:UNUSED_PAD src0_sel:DWORD src1_sel:WORD_1
	v_cvt_f32_f16_e32 v7, v7
	v_fma_f16 v1, v5, v6, -v1
	v_cvt_f32_f16_e32 v1, v1
	v_cvt_f64_f32_e32 v[5:6], v7
	v_cvt_f64_f32_e32 v[7:8], v1
	v_mov_b32_e32 v1, s9
	v_mul_f64 v[5:6], v[5:6], s[14:15]
	v_addc_co_u32_e32 v4, vcc, v4, v1, vcc
	v_mul_f64 v[7:8], v[7:8], s[14:15]
	v_and_or_b32 v1, v6, s16, v5
	v_cmp_ne_u32_e32 vcc, 0, v1
	v_lshrrev_b32_e32 v5, 8, v6
	v_and_or_b32 v7, v8, s16, v7
	v_bfe_u32 v10, v6, 20, 11
	v_cndmask_b32_e64 v1, 0, 1, vcc
	v_cmp_ne_u32_e32 vcc, 0, v7
	v_lshrrev_b32_e32 v11, 8, v8
	v_bfe_u32 v12, v8, 20, 11
	v_sub_u32_e32 v13, 0x3f1, v10
	v_cndmask_b32_e64 v7, 0, 1, vcc
	v_and_or_b32 v1, v5, s10, v1
	v_sub_u32_e32 v14, 0x3f1, v12
	v_med3_i32 v5, v13, 0, 13
	v_and_or_b32 v7, v11, s10, v7
	v_or_b32_e32 v13, 0x1000, v1
	v_add_u32_e32 v10, 0xfffffc10, v10
	v_med3_i32 v11, v14, 0, 13
	v_cmp_ne_u32_e32 vcc, 0, v1
	v_or_b32_e32 v15, 0x1000, v7
	v_lshrrev_b32_e32 v17, v5, v13
	v_add_u32_e32 v12, 0xfffffc10, v12
	v_lshl_or_b32 v14, v10, 12, v1
	v_cndmask_b32_e64 v1, 0, 1, vcc
	v_cmp_ne_u32_e32 vcc, 0, v7
	v_lshrrev_b32_e32 v18, v11, v15
	v_lshlrev_b32_e32 v5, v5, v17
	v_lshl_or_b32 v16, v12, 12, v7
	v_cndmask_b32_e64 v7, 0, 1, vcc
	v_lshlrev_b32_e32 v11, v11, v18
	v_cmp_ne_u32_e32 vcc, v5, v13
	v_cndmask_b32_e64 v5, 0, 1, vcc
	v_cmp_ne_u32_e32 vcc, v11, v15
	v_cndmask_b32_e64 v11, 0, 1, vcc
	v_or_b32_e32 v5, v17, v5
	v_cmp_gt_i32_e32 vcc, 1, v10
	v_cndmask_b32_e32 v5, v14, v5, vcc
	v_or_b32_e32 v11, v18, v11
	v_cmp_gt_i32_e32 vcc, 1, v12
	v_and_b32_e32 v13, 7, v5
	v_cndmask_b32_e32 v11, v16, v11, vcc
	v_cmp_lt_i32_e32 vcc, 5, v13
	v_cmp_eq_u32_e64 s[0:1], 3, v13
	v_lshrrev_b32_e32 v5, 2, v5
	v_and_b32_e32 v14, 7, v11
	s_or_b64 vcc, s[0:1], vcc
	v_cmp_lt_i32_e64 s[2:3], 5, v14
	v_cmp_eq_u32_e64 s[4:5], 3, v14
	v_addc_co_u32_e32 v5, vcc, 0, v5, vcc
	v_lshrrev_b32_e32 v11, 2, v11
	s_or_b64 vcc, s[4:5], s[2:3]
	v_addc_co_u32_e32 v11, vcc, 0, v11, vcc
	v_cmp_gt_i32_e32 vcc, 31, v10
	v_cndmask_b32_e32 v5, v0, v5, vcc
	v_cmp_gt_i32_e32 vcc, 31, v12
	v_lshl_or_b32 v1, v1, 9, v0
	v_cndmask_b32_e32 v11, v0, v11, vcc
	v_cmp_eq_u32_e32 vcc, s18, v10
	v_lshrrev_b32_e32 v6, 16, v6
	v_lshl_or_b32 v7, v7, 9, v0
	v_cndmask_b32_e32 v1, v5, v1, vcc
	v_cmp_eq_u32_e32 vcc, s18, v12
	v_lshrrev_b32_e32 v8, 16, v8
	v_cndmask_b32_e32 v5, v11, v7, vcc
	v_and_or_b32 v1, v6, s17, v1
	v_and_or_b32 v5, v8, s17, v5
	v_and_b32_e32 v1, 0xffff, v1
	v_lshl_or_b32 v1, v5, 16, v1
	global_store_dword v[3:4], v1, off
	global_load_dword v1, v29, s[6:7] offset:784
	v_lshrrev_b32_e32 v5, 16, v2
	v_mov_b32_e32 v7, s9
	v_add_co_u32_e32 v3, vcc, s8, v3
	v_addc_co_u32_e32 v4, vcc, v4, v7, vcc
	s_waitcnt vmcnt(0)
	v_mul_f16_sdwa v6, v5, v1 dst_sel:DWORD dst_unused:UNUSED_PAD src0_sel:DWORD src1_sel:WORD_1
	v_fma_f16 v6, v2, v1, v6
	v_mul_f16_sdwa v2, v2, v1 dst_sel:DWORD dst_unused:UNUSED_PAD src0_sel:DWORD src1_sel:WORD_1
	v_cvt_f32_f16_e32 v6, v6
	v_fma_f16 v1, v1, v5, -v2
	v_cvt_f32_f16_e32 v5, v1
	v_cvt_f64_f32_e32 v[1:2], v6
	v_cvt_f64_f32_e32 v[5:6], v5
	v_mul_f64 v[1:2], v[1:2], s[14:15]
	v_mul_f64 v[5:6], v[5:6], s[14:15]
	v_and_or_b32 v1, v2, s16, v1
	v_cmp_ne_u32_e32 vcc, 0, v1
	v_and_or_b32 v5, v6, s16, v5
	v_lshrrev_b32_e32 v7, 8, v2
	v_bfe_u32 v8, v2, 20, 11
	v_cndmask_b32_e64 v1, 0, 1, vcc
	v_cmp_ne_u32_e32 vcc, 0, v5
	v_lshrrev_b32_e32 v10, 8, v6
	v_bfe_u32 v11, v6, 20, 11
	v_sub_u32_e32 v12, 0x3f1, v8
	v_cndmask_b32_e64 v5, 0, 1, vcc
	v_and_or_b32 v1, v7, s10, v1
	v_sub_u32_e32 v13, 0x3f1, v11
	v_med3_i32 v7, v12, 0, 13
	v_and_or_b32 v5, v10, s10, v5
	v_or_b32_e32 v12, 0x1000, v1
	v_add_u32_e32 v8, 0xfffffc10, v8
	v_med3_i32 v10, v13, 0, 13
	v_cmp_ne_u32_e32 vcc, 0, v1
	v_or_b32_e32 v14, 0x1000, v5
	v_lshrrev_b32_e32 v16, v7, v12
	v_add_u32_e32 v11, 0xfffffc10, v11
	v_lshl_or_b32 v13, v8, 12, v1
	v_cndmask_b32_e64 v1, 0, 1, vcc
	v_cmp_ne_u32_e32 vcc, 0, v5
	v_lshrrev_b32_e32 v17, v10, v14
	v_lshlrev_b32_e32 v7, v7, v16
	v_lshl_or_b32 v15, v11, 12, v5
	v_cndmask_b32_e64 v5, 0, 1, vcc
	v_lshlrev_b32_e32 v10, v10, v17
	v_cmp_ne_u32_e32 vcc, v7, v12
	v_cndmask_b32_e64 v7, 0, 1, vcc
	v_cmp_ne_u32_e32 vcc, v10, v14
	v_cndmask_b32_e64 v10, 0, 1, vcc
	v_or_b32_e32 v7, v16, v7
	v_cmp_gt_i32_e32 vcc, 1, v8
	v_cndmask_b32_e32 v7, v13, v7, vcc
	v_or_b32_e32 v10, v17, v10
	v_cmp_gt_i32_e32 vcc, 1, v11
	v_and_b32_e32 v12, 7, v7
	v_cndmask_b32_e32 v10, v15, v10, vcc
	v_cmp_lt_i32_e32 vcc, 5, v12
	v_cmp_eq_u32_e64 s[0:1], 3, v12
	v_lshrrev_b32_e32 v7, 2, v7
	v_and_b32_e32 v13, 7, v10
	s_or_b64 vcc, s[0:1], vcc
	v_cmp_lt_i32_e64 s[2:3], 5, v13
	v_cmp_eq_u32_e64 s[4:5], 3, v13
	v_addc_co_u32_e32 v7, vcc, 0, v7, vcc
	v_lshrrev_b32_e32 v10, 2, v10
	s_or_b64 vcc, s[4:5], s[2:3]
	v_addc_co_u32_e32 v10, vcc, 0, v10, vcc
	v_cmp_gt_i32_e32 vcc, 31, v8
	v_cndmask_b32_e32 v7, v0, v7, vcc
	v_cmp_gt_i32_e32 vcc, 31, v11
	v_lshl_or_b32 v1, v1, 9, v0
	v_cndmask_b32_e32 v10, v0, v10, vcc
	v_cmp_eq_u32_e32 vcc, s18, v8
	v_lshrrev_b32_e32 v2, 16, v2
	v_lshl_or_b32 v5, v5, 9, v0
	v_cndmask_b32_e32 v1, v7, v1, vcc
	v_cmp_eq_u32_e32 vcc, s18, v11
	v_lshrrev_b32_e32 v6, 16, v6
	v_cndmask_b32_e32 v5, v10, v5, vcc
	v_and_or_b32 v1, v2, s17, v1
	v_and_or_b32 v2, v6, s17, v5
	v_and_b32_e32 v1, 0xffff, v1
	v_lshl_or_b32 v1, v2, 16, v1
	global_store_dword v[3:4], v1, off
	global_load_dword v5, v29, s[6:7] offset:980
	ds_read2_b32 v[1:2], v9 offset0:117 offset1:166
	v_add_co_u32_e32 v3, vcc, s8, v3
	s_waitcnt lgkmcnt(0)
	v_lshrrev_b32_e32 v6, 16, v1
	s_waitcnt vmcnt(0)
	v_mul_f16_sdwa v7, v6, v5 dst_sel:DWORD dst_unused:UNUSED_PAD src0_sel:DWORD src1_sel:WORD_1
	v_fma_f16 v7, v1, v5, v7
	v_mul_f16_sdwa v1, v1, v5 dst_sel:DWORD dst_unused:UNUSED_PAD src0_sel:DWORD src1_sel:WORD_1
	v_cvt_f32_f16_e32 v7, v7
	v_fma_f16 v1, v5, v6, -v1
	v_cvt_f32_f16_e32 v1, v1
	v_cvt_f64_f32_e32 v[5:6], v7
	v_cvt_f64_f32_e32 v[7:8], v1
	v_mov_b32_e32 v1, s9
	v_mul_f64 v[5:6], v[5:6], s[14:15]
	v_addc_co_u32_e32 v4, vcc, v4, v1, vcc
	v_mul_f64 v[7:8], v[7:8], s[14:15]
	v_and_or_b32 v1, v6, s16, v5
	v_cmp_ne_u32_e32 vcc, 0, v1
	v_lshrrev_b32_e32 v5, 8, v6
	v_and_or_b32 v7, v8, s16, v7
	v_bfe_u32 v9, v6, 20, 11
	v_cndmask_b32_e64 v1, 0, 1, vcc
	v_cmp_ne_u32_e32 vcc, 0, v7
	v_lshrrev_b32_e32 v10, 8, v8
	v_bfe_u32 v11, v8, 20, 11
	v_sub_u32_e32 v12, 0x3f1, v9
	v_cndmask_b32_e64 v7, 0, 1, vcc
	v_and_or_b32 v1, v5, s10, v1
	v_sub_u32_e32 v13, 0x3f1, v11
	v_med3_i32 v5, v12, 0, 13
	v_and_or_b32 v7, v10, s10, v7
	v_or_b32_e32 v12, 0x1000, v1
	v_add_u32_e32 v9, 0xfffffc10, v9
	v_med3_i32 v10, v13, 0, 13
	v_cmp_ne_u32_e32 vcc, 0, v1
	v_or_b32_e32 v14, 0x1000, v7
	v_lshrrev_b32_e32 v16, v5, v12
	v_add_u32_e32 v11, 0xfffffc10, v11
	v_lshl_or_b32 v13, v9, 12, v1
	v_cndmask_b32_e64 v1, 0, 1, vcc
	v_cmp_ne_u32_e32 vcc, 0, v7
	v_lshrrev_b32_e32 v17, v10, v14
	v_lshlrev_b32_e32 v5, v5, v16
	v_lshl_or_b32 v15, v11, 12, v7
	v_cndmask_b32_e64 v7, 0, 1, vcc
	v_lshlrev_b32_e32 v10, v10, v17
	v_cmp_ne_u32_e32 vcc, v5, v12
	v_cndmask_b32_e64 v5, 0, 1, vcc
	v_cmp_ne_u32_e32 vcc, v10, v14
	v_cndmask_b32_e64 v10, 0, 1, vcc
	v_or_b32_e32 v5, v16, v5
	v_cmp_gt_i32_e32 vcc, 1, v9
	v_cndmask_b32_e32 v5, v13, v5, vcc
	v_or_b32_e32 v10, v17, v10
	v_cmp_gt_i32_e32 vcc, 1, v11
	v_and_b32_e32 v12, 7, v5
	v_cndmask_b32_e32 v10, v15, v10, vcc
	v_cmp_lt_i32_e32 vcc, 5, v12
	v_cmp_eq_u32_e64 s[0:1], 3, v12
	v_lshrrev_b32_e32 v5, 2, v5
	v_and_b32_e32 v13, 7, v10
	s_or_b64 vcc, s[0:1], vcc
	v_cmp_lt_i32_e64 s[2:3], 5, v13
	v_cmp_eq_u32_e64 s[4:5], 3, v13
	v_addc_co_u32_e32 v5, vcc, 0, v5, vcc
	v_lshrrev_b32_e32 v10, 2, v10
	s_or_b64 vcc, s[4:5], s[2:3]
	v_addc_co_u32_e32 v10, vcc, 0, v10, vcc
	v_cmp_gt_i32_e32 vcc, 31, v9
	v_cndmask_b32_e32 v5, v0, v5, vcc
	v_cmp_gt_i32_e32 vcc, 31, v11
	v_lshl_or_b32 v1, v1, 9, v0
	v_cndmask_b32_e32 v10, v0, v10, vcc
	v_cmp_eq_u32_e32 vcc, s18, v9
	v_lshrrev_b32_e32 v6, 16, v6
	v_lshl_or_b32 v7, v7, 9, v0
	v_cndmask_b32_e32 v1, v5, v1, vcc
	v_cmp_eq_u32_e32 vcc, s18, v11
	v_lshrrev_b32_e32 v8, 16, v8
	v_cndmask_b32_e32 v5, v10, v7, vcc
	v_and_or_b32 v1, v6, s17, v1
	v_and_or_b32 v5, v8, s17, v5
	v_and_b32_e32 v1, 0xffff, v1
	v_lshl_or_b32 v1, v5, 16, v1
	global_store_dword v[3:4], v1, off
	global_load_dword v1, v29, s[6:7] offset:1176
	v_lshrrev_b32_e32 v5, 16, v2
	v_mov_b32_e32 v7, s9
	v_add_co_u32_e32 v3, vcc, s8, v3
	v_addc_co_u32_e32 v4, vcc, v4, v7, vcc
	s_waitcnt vmcnt(0)
	v_mul_f16_sdwa v6, v5, v1 dst_sel:DWORD dst_unused:UNUSED_PAD src0_sel:DWORD src1_sel:WORD_1
	v_fma_f16 v6, v2, v1, v6
	v_mul_f16_sdwa v2, v2, v1 dst_sel:DWORD dst_unused:UNUSED_PAD src0_sel:DWORD src1_sel:WORD_1
	v_cvt_f32_f16_e32 v6, v6
	v_fma_f16 v1, v1, v5, -v2
	v_cvt_f32_f16_e32 v5, v1
	v_cvt_f64_f32_e32 v[1:2], v6
	v_cvt_f64_f32_e32 v[5:6], v5
	v_mul_f64 v[1:2], v[1:2], s[14:15]
	v_mul_f64 v[5:6], v[5:6], s[14:15]
	v_and_or_b32 v1, v2, s16, v1
	v_cmp_ne_u32_e32 vcc, 0, v1
	v_and_or_b32 v5, v6, s16, v5
	v_lshrrev_b32_e32 v7, 8, v2
	v_bfe_u32 v8, v2, 20, 11
	v_cndmask_b32_e64 v1, 0, 1, vcc
	v_cmp_ne_u32_e32 vcc, 0, v5
	v_lshrrev_b32_e32 v9, 8, v6
	v_bfe_u32 v10, v6, 20, 11
	v_sub_u32_e32 v11, 0x3f1, v8
	v_cndmask_b32_e64 v5, 0, 1, vcc
	v_and_or_b32 v1, v7, s10, v1
	v_sub_u32_e32 v12, 0x3f1, v10
	v_med3_i32 v7, v11, 0, 13
	v_and_or_b32 v5, v9, s10, v5
	v_or_b32_e32 v11, 0x1000, v1
	v_add_u32_e32 v8, 0xfffffc10, v8
	v_med3_i32 v9, v12, 0, 13
	v_cmp_ne_u32_e32 vcc, 0, v1
	v_or_b32_e32 v13, 0x1000, v5
	v_lshrrev_b32_e32 v15, v7, v11
	v_add_u32_e32 v10, 0xfffffc10, v10
	v_lshl_or_b32 v12, v8, 12, v1
	v_cndmask_b32_e64 v1, 0, 1, vcc
	v_cmp_ne_u32_e32 vcc, 0, v5
	v_lshrrev_b32_e32 v16, v9, v13
	v_lshlrev_b32_e32 v7, v7, v15
	v_lshl_or_b32 v14, v10, 12, v5
	v_cndmask_b32_e64 v5, 0, 1, vcc
	v_lshlrev_b32_e32 v9, v9, v16
	v_cmp_ne_u32_e32 vcc, v7, v11
	v_cndmask_b32_e64 v7, 0, 1, vcc
	v_cmp_ne_u32_e32 vcc, v9, v13
	v_cndmask_b32_e64 v9, 0, 1, vcc
	v_or_b32_e32 v7, v15, v7
	v_cmp_gt_i32_e32 vcc, 1, v8
	v_cndmask_b32_e32 v7, v12, v7, vcc
	v_or_b32_e32 v9, v16, v9
	v_cmp_gt_i32_e32 vcc, 1, v10
	v_and_b32_e32 v11, 7, v7
	v_cndmask_b32_e32 v9, v14, v9, vcc
	v_cmp_lt_i32_e32 vcc, 5, v11
	v_cmp_eq_u32_e64 s[0:1], 3, v11
	v_lshrrev_b32_e32 v7, 2, v7
	v_and_b32_e32 v12, 7, v9
	s_or_b64 vcc, s[0:1], vcc
	v_cmp_lt_i32_e64 s[2:3], 5, v12
	v_cmp_eq_u32_e64 s[4:5], 3, v12
	v_addc_co_u32_e32 v7, vcc, 0, v7, vcc
	v_lshrrev_b32_e32 v9, 2, v9
	s_or_b64 vcc, s[4:5], s[2:3]
	v_addc_co_u32_e32 v9, vcc, 0, v9, vcc
	v_cmp_gt_i32_e32 vcc, 31, v8
	v_cndmask_b32_e32 v7, v0, v7, vcc
	v_cmp_gt_i32_e32 vcc, 31, v10
	v_lshl_or_b32 v1, v1, 9, v0
	v_cndmask_b32_e32 v9, v0, v9, vcc
	v_cmp_eq_u32_e32 vcc, s18, v8
	v_lshrrev_b32_e32 v2, 16, v2
	v_lshl_or_b32 v5, v5, 9, v0
	v_cndmask_b32_e32 v1, v7, v1, vcc
	v_cmp_eq_u32_e32 vcc, s18, v10
	v_lshrrev_b32_e32 v6, 16, v6
	v_cndmask_b32_e32 v5, v9, v5, vcc
	v_and_or_b32 v1, v2, s17, v1
	v_and_or_b32 v2, v6, s17, v5
	v_and_b32_e32 v1, 0xffff, v1
	v_lshl_or_b32 v1, v2, 16, v1
	global_store_dword v[3:4], v1, off
	global_load_dword v5, v29, s[6:7] offset:1372
	v_add_u32_e32 v9, 0x400, v29
	ds_read2_b32 v[1:2], v9 offset0:87 offset1:136
	v_add_co_u32_e32 v3, vcc, s8, v3
	s_waitcnt lgkmcnt(0)
	v_lshrrev_b32_e32 v6, 16, v1
	s_waitcnt vmcnt(0)
	v_mul_f16_sdwa v7, v6, v5 dst_sel:DWORD dst_unused:UNUSED_PAD src0_sel:DWORD src1_sel:WORD_1
	v_fma_f16 v7, v1, v5, v7
	v_mul_f16_sdwa v1, v1, v5 dst_sel:DWORD dst_unused:UNUSED_PAD src0_sel:DWORD src1_sel:WORD_1
	v_cvt_f32_f16_e32 v7, v7
	v_fma_f16 v1, v5, v6, -v1
	v_cvt_f32_f16_e32 v1, v1
	v_cvt_f64_f32_e32 v[5:6], v7
	v_cvt_f64_f32_e32 v[7:8], v1
	v_mov_b32_e32 v1, s9
	v_mul_f64 v[5:6], v[5:6], s[14:15]
	v_addc_co_u32_e32 v4, vcc, v4, v1, vcc
	v_mul_f64 v[7:8], v[7:8], s[14:15]
	v_and_or_b32 v1, v6, s16, v5
	v_cmp_ne_u32_e32 vcc, 0, v1
	v_lshrrev_b32_e32 v5, 8, v6
	v_and_or_b32 v7, v8, s16, v7
	v_bfe_u32 v10, v6, 20, 11
	v_cndmask_b32_e64 v1, 0, 1, vcc
	v_cmp_ne_u32_e32 vcc, 0, v7
	v_lshrrev_b32_e32 v11, 8, v8
	v_bfe_u32 v12, v8, 20, 11
	v_sub_u32_e32 v13, 0x3f1, v10
	v_cndmask_b32_e64 v7, 0, 1, vcc
	v_and_or_b32 v1, v5, s10, v1
	v_sub_u32_e32 v14, 0x3f1, v12
	v_med3_i32 v5, v13, 0, 13
	v_and_or_b32 v7, v11, s10, v7
	v_or_b32_e32 v13, 0x1000, v1
	v_add_u32_e32 v10, 0xfffffc10, v10
	v_med3_i32 v11, v14, 0, 13
	v_cmp_ne_u32_e32 vcc, 0, v1
	v_or_b32_e32 v15, 0x1000, v7
	v_lshrrev_b32_e32 v17, v5, v13
	v_add_u32_e32 v12, 0xfffffc10, v12
	v_lshl_or_b32 v14, v10, 12, v1
	v_cndmask_b32_e64 v1, 0, 1, vcc
	v_cmp_ne_u32_e32 vcc, 0, v7
	v_lshrrev_b32_e32 v18, v11, v15
	v_lshlrev_b32_e32 v5, v5, v17
	v_lshl_or_b32 v16, v12, 12, v7
	v_cndmask_b32_e64 v7, 0, 1, vcc
	v_lshlrev_b32_e32 v11, v11, v18
	v_cmp_ne_u32_e32 vcc, v5, v13
	v_cndmask_b32_e64 v5, 0, 1, vcc
	v_cmp_ne_u32_e32 vcc, v11, v15
	v_cndmask_b32_e64 v11, 0, 1, vcc
	v_or_b32_e32 v5, v17, v5
	v_cmp_gt_i32_e32 vcc, 1, v10
	v_cndmask_b32_e32 v5, v14, v5, vcc
	v_or_b32_e32 v11, v18, v11
	v_cmp_gt_i32_e32 vcc, 1, v12
	v_and_b32_e32 v13, 7, v5
	v_cndmask_b32_e32 v11, v16, v11, vcc
	v_cmp_lt_i32_e32 vcc, 5, v13
	v_cmp_eq_u32_e64 s[0:1], 3, v13
	v_lshrrev_b32_e32 v5, 2, v5
	v_and_b32_e32 v14, 7, v11
	s_or_b64 vcc, s[0:1], vcc
	v_cmp_lt_i32_e64 s[2:3], 5, v14
	v_cmp_eq_u32_e64 s[4:5], 3, v14
	v_addc_co_u32_e32 v5, vcc, 0, v5, vcc
	v_lshrrev_b32_e32 v11, 2, v11
	s_or_b64 vcc, s[4:5], s[2:3]
	v_addc_co_u32_e32 v11, vcc, 0, v11, vcc
	v_cmp_gt_i32_e32 vcc, 31, v10
	v_cndmask_b32_e32 v5, v0, v5, vcc
	v_cmp_gt_i32_e32 vcc, 31, v12
	v_lshl_or_b32 v1, v1, 9, v0
	v_cndmask_b32_e32 v11, v0, v11, vcc
	v_cmp_eq_u32_e32 vcc, s18, v10
	v_lshrrev_b32_e32 v6, 16, v6
	v_lshl_or_b32 v7, v7, 9, v0
	v_cndmask_b32_e32 v1, v5, v1, vcc
	v_cmp_eq_u32_e32 vcc, s18, v12
	v_lshrrev_b32_e32 v8, 16, v8
	v_cndmask_b32_e32 v5, v11, v7, vcc
	v_and_or_b32 v1, v6, s17, v1
	v_and_or_b32 v5, v8, s17, v5
	v_and_b32_e32 v1, 0xffff, v1
	v_lshl_or_b32 v1, v5, 16, v1
	global_store_dword v[3:4], v1, off
	global_load_dword v1, v29, s[6:7] offset:1568
	v_lshrrev_b32_e32 v5, 16, v2
	v_mov_b32_e32 v7, s9
	v_add_co_u32_e32 v3, vcc, s8, v3
	v_addc_co_u32_e32 v4, vcc, v4, v7, vcc
	s_waitcnt vmcnt(0)
	v_mul_f16_sdwa v6, v5, v1 dst_sel:DWORD dst_unused:UNUSED_PAD src0_sel:DWORD src1_sel:WORD_1
	v_fma_f16 v6, v2, v1, v6
	v_mul_f16_sdwa v2, v2, v1 dst_sel:DWORD dst_unused:UNUSED_PAD src0_sel:DWORD src1_sel:WORD_1
	v_cvt_f32_f16_e32 v6, v6
	v_fma_f16 v1, v1, v5, -v2
	v_cvt_f32_f16_e32 v5, v1
	v_cvt_f64_f32_e32 v[1:2], v6
	v_cvt_f64_f32_e32 v[5:6], v5
	v_mul_f64 v[1:2], v[1:2], s[14:15]
	v_mul_f64 v[5:6], v[5:6], s[14:15]
	v_and_or_b32 v1, v2, s16, v1
	v_cmp_ne_u32_e32 vcc, 0, v1
	v_and_or_b32 v5, v6, s16, v5
	v_lshrrev_b32_e32 v7, 8, v2
	v_bfe_u32 v8, v2, 20, 11
	v_cndmask_b32_e64 v1, 0, 1, vcc
	v_cmp_ne_u32_e32 vcc, 0, v5
	v_lshrrev_b32_e32 v10, 8, v6
	v_bfe_u32 v11, v6, 20, 11
	v_sub_u32_e32 v12, 0x3f1, v8
	v_cndmask_b32_e64 v5, 0, 1, vcc
	v_and_or_b32 v1, v7, s10, v1
	v_sub_u32_e32 v13, 0x3f1, v11
	v_med3_i32 v7, v12, 0, 13
	v_and_or_b32 v5, v10, s10, v5
	v_or_b32_e32 v12, 0x1000, v1
	v_add_u32_e32 v8, 0xfffffc10, v8
	v_med3_i32 v10, v13, 0, 13
	v_cmp_ne_u32_e32 vcc, 0, v1
	v_or_b32_e32 v14, 0x1000, v5
	v_lshrrev_b32_e32 v16, v7, v12
	v_add_u32_e32 v11, 0xfffffc10, v11
	v_lshl_or_b32 v13, v8, 12, v1
	v_cndmask_b32_e64 v1, 0, 1, vcc
	v_cmp_ne_u32_e32 vcc, 0, v5
	v_lshrrev_b32_e32 v17, v10, v14
	v_lshlrev_b32_e32 v7, v7, v16
	v_lshl_or_b32 v15, v11, 12, v5
	v_cndmask_b32_e64 v5, 0, 1, vcc
	v_lshlrev_b32_e32 v10, v10, v17
	v_cmp_ne_u32_e32 vcc, v7, v12
	v_cndmask_b32_e64 v7, 0, 1, vcc
	v_cmp_ne_u32_e32 vcc, v10, v14
	v_cndmask_b32_e64 v10, 0, 1, vcc
	v_or_b32_e32 v7, v16, v7
	v_cmp_gt_i32_e32 vcc, 1, v8
	v_cndmask_b32_e32 v7, v13, v7, vcc
	v_or_b32_e32 v10, v17, v10
	v_cmp_gt_i32_e32 vcc, 1, v11
	v_and_b32_e32 v12, 7, v7
	v_cndmask_b32_e32 v10, v15, v10, vcc
	v_cmp_lt_i32_e32 vcc, 5, v12
	v_cmp_eq_u32_e64 s[0:1], 3, v12
	v_lshrrev_b32_e32 v7, 2, v7
	v_and_b32_e32 v13, 7, v10
	s_or_b64 vcc, s[0:1], vcc
	v_cmp_lt_i32_e64 s[2:3], 5, v13
	v_cmp_eq_u32_e64 s[4:5], 3, v13
	v_addc_co_u32_e32 v7, vcc, 0, v7, vcc
	v_lshrrev_b32_e32 v10, 2, v10
	s_or_b64 vcc, s[4:5], s[2:3]
	v_addc_co_u32_e32 v10, vcc, 0, v10, vcc
	v_cmp_gt_i32_e32 vcc, 31, v8
	v_cndmask_b32_e32 v7, v0, v7, vcc
	v_cmp_gt_i32_e32 vcc, 31, v11
	v_lshl_or_b32 v1, v1, 9, v0
	v_cndmask_b32_e32 v10, v0, v10, vcc
	v_cmp_eq_u32_e32 vcc, s18, v8
	v_lshrrev_b32_e32 v2, 16, v2
	v_lshl_or_b32 v5, v5, 9, v0
	v_cndmask_b32_e32 v1, v7, v1, vcc
	v_cmp_eq_u32_e32 vcc, s18, v11
	v_lshrrev_b32_e32 v6, 16, v6
	v_cndmask_b32_e32 v5, v10, v5, vcc
	v_and_or_b32 v1, v2, s17, v1
	v_and_or_b32 v2, v6, s17, v5
	v_and_b32_e32 v1, 0xffff, v1
	v_lshl_or_b32 v1, v2, 16, v1
	global_store_dword v[3:4], v1, off
	global_load_dword v5, v29, s[6:7] offset:1764
	ds_read2_b32 v[1:2], v9 offset0:185 offset1:234
	v_add_co_u32_e32 v3, vcc, s8, v3
	s_waitcnt lgkmcnt(0)
	v_lshrrev_b32_e32 v6, 16, v1
	s_waitcnt vmcnt(0)
	v_mul_f16_sdwa v7, v6, v5 dst_sel:DWORD dst_unused:UNUSED_PAD src0_sel:DWORD src1_sel:WORD_1
	v_fma_f16 v7, v1, v5, v7
	v_mul_f16_sdwa v1, v1, v5 dst_sel:DWORD dst_unused:UNUSED_PAD src0_sel:DWORD src1_sel:WORD_1
	v_cvt_f32_f16_e32 v7, v7
	v_fma_f16 v1, v5, v6, -v1
	v_cvt_f32_f16_e32 v1, v1
	v_cvt_f64_f32_e32 v[5:6], v7
	v_cvt_f64_f32_e32 v[7:8], v1
	v_mov_b32_e32 v1, s9
	v_mul_f64 v[5:6], v[5:6], s[14:15]
	v_addc_co_u32_e32 v4, vcc, v4, v1, vcc
	v_mul_f64 v[7:8], v[7:8], s[14:15]
	v_and_or_b32 v1, v6, s16, v5
	v_cmp_ne_u32_e32 vcc, 0, v1
	v_lshrrev_b32_e32 v5, 8, v6
	v_and_or_b32 v7, v8, s16, v7
	v_bfe_u32 v9, v6, 20, 11
	v_cndmask_b32_e64 v1, 0, 1, vcc
	v_cmp_ne_u32_e32 vcc, 0, v7
	v_lshrrev_b32_e32 v10, 8, v8
	v_bfe_u32 v11, v8, 20, 11
	v_sub_u32_e32 v12, 0x3f1, v9
	v_cndmask_b32_e64 v7, 0, 1, vcc
	v_and_or_b32 v1, v5, s10, v1
	v_sub_u32_e32 v13, 0x3f1, v11
	v_med3_i32 v5, v12, 0, 13
	v_and_or_b32 v7, v10, s10, v7
	v_or_b32_e32 v12, 0x1000, v1
	v_add_u32_e32 v9, 0xfffffc10, v9
	v_med3_i32 v10, v13, 0, 13
	v_cmp_ne_u32_e32 vcc, 0, v1
	v_or_b32_e32 v14, 0x1000, v7
	v_lshrrev_b32_e32 v16, v5, v12
	v_add_u32_e32 v11, 0xfffffc10, v11
	v_lshl_or_b32 v13, v9, 12, v1
	v_cndmask_b32_e64 v1, 0, 1, vcc
	v_cmp_ne_u32_e32 vcc, 0, v7
	v_lshrrev_b32_e32 v17, v10, v14
	v_lshlrev_b32_e32 v5, v5, v16
	v_lshl_or_b32 v15, v11, 12, v7
	v_cndmask_b32_e64 v7, 0, 1, vcc
	v_lshlrev_b32_e32 v10, v10, v17
	v_cmp_ne_u32_e32 vcc, v5, v12
	v_cndmask_b32_e64 v5, 0, 1, vcc
	v_cmp_ne_u32_e32 vcc, v10, v14
	v_cndmask_b32_e64 v10, 0, 1, vcc
	v_or_b32_e32 v5, v16, v5
	v_cmp_gt_i32_e32 vcc, 1, v9
	v_cndmask_b32_e32 v5, v13, v5, vcc
	v_or_b32_e32 v10, v17, v10
	v_cmp_gt_i32_e32 vcc, 1, v11
	v_and_b32_e32 v12, 7, v5
	v_cndmask_b32_e32 v10, v15, v10, vcc
	v_cmp_lt_i32_e32 vcc, 5, v12
	v_cmp_eq_u32_e64 s[0:1], 3, v12
	v_lshrrev_b32_e32 v5, 2, v5
	v_and_b32_e32 v13, 7, v10
	s_or_b64 vcc, s[0:1], vcc
	v_cmp_lt_i32_e64 s[2:3], 5, v13
	v_cmp_eq_u32_e64 s[4:5], 3, v13
	v_addc_co_u32_e32 v5, vcc, 0, v5, vcc
	v_lshrrev_b32_e32 v10, 2, v10
	s_or_b64 vcc, s[4:5], s[2:3]
	v_addc_co_u32_e32 v10, vcc, 0, v10, vcc
	v_cmp_gt_i32_e32 vcc, 31, v9
	v_cndmask_b32_e32 v5, v0, v5, vcc
	v_cmp_gt_i32_e32 vcc, 31, v11
	v_lshl_or_b32 v1, v1, 9, v0
	v_cndmask_b32_e32 v10, v0, v10, vcc
	v_cmp_eq_u32_e32 vcc, s18, v9
	v_lshrrev_b32_e32 v6, 16, v6
	v_lshl_or_b32 v7, v7, 9, v0
	v_cndmask_b32_e32 v1, v5, v1, vcc
	v_cmp_eq_u32_e32 vcc, s18, v11
	v_lshrrev_b32_e32 v8, 16, v8
	v_cndmask_b32_e32 v5, v10, v7, vcc
	v_and_or_b32 v1, v6, s17, v1
	v_and_or_b32 v5, v8, s17, v5
	v_and_b32_e32 v1, 0xffff, v1
	v_lshl_or_b32 v1, v5, 16, v1
	global_store_dword v[3:4], v1, off
	global_load_dword v1, v29, s[6:7] offset:1960
	v_lshrrev_b32_e32 v5, 16, v2
	v_mov_b32_e32 v7, s9
	v_add_co_u32_e32 v3, vcc, s8, v3
	v_addc_co_u32_e32 v4, vcc, v4, v7, vcc
	s_waitcnt vmcnt(0)
	v_mul_f16_sdwa v6, v5, v1 dst_sel:DWORD dst_unused:UNUSED_PAD src0_sel:DWORD src1_sel:WORD_1
	v_fma_f16 v6, v2, v1, v6
	v_mul_f16_sdwa v2, v2, v1 dst_sel:DWORD dst_unused:UNUSED_PAD src0_sel:DWORD src1_sel:WORD_1
	v_cvt_f32_f16_e32 v6, v6
	v_fma_f16 v1, v1, v5, -v2
	v_cvt_f32_f16_e32 v5, v1
	v_cvt_f64_f32_e32 v[1:2], v6
	v_cvt_f64_f32_e32 v[5:6], v5
	v_mul_f64 v[1:2], v[1:2], s[14:15]
	v_mul_f64 v[5:6], v[5:6], s[14:15]
	v_and_or_b32 v1, v2, s16, v1
	v_cmp_ne_u32_e32 vcc, 0, v1
	v_and_or_b32 v5, v6, s16, v5
	v_lshrrev_b32_e32 v7, 8, v2
	v_bfe_u32 v8, v2, 20, 11
	v_cndmask_b32_e64 v1, 0, 1, vcc
	v_cmp_ne_u32_e32 vcc, 0, v5
	v_lshrrev_b32_e32 v9, 8, v6
	v_bfe_u32 v10, v6, 20, 11
	v_sub_u32_e32 v11, 0x3f1, v8
	v_cndmask_b32_e64 v5, 0, 1, vcc
	v_and_or_b32 v1, v7, s10, v1
	v_sub_u32_e32 v12, 0x3f1, v10
	v_med3_i32 v7, v11, 0, 13
	v_and_or_b32 v5, v9, s10, v5
	v_or_b32_e32 v11, 0x1000, v1
	v_add_u32_e32 v8, 0xfffffc10, v8
	v_med3_i32 v9, v12, 0, 13
	v_cmp_ne_u32_e32 vcc, 0, v1
	v_or_b32_e32 v13, 0x1000, v5
	v_lshrrev_b32_e32 v15, v7, v11
	v_add_u32_e32 v10, 0xfffffc10, v10
	v_lshl_or_b32 v12, v8, 12, v1
	v_cndmask_b32_e64 v1, 0, 1, vcc
	v_cmp_ne_u32_e32 vcc, 0, v5
	v_lshrrev_b32_e32 v16, v9, v13
	v_lshlrev_b32_e32 v7, v7, v15
	v_lshl_or_b32 v14, v10, 12, v5
	v_cndmask_b32_e64 v5, 0, 1, vcc
	v_lshlrev_b32_e32 v9, v9, v16
	v_cmp_ne_u32_e32 vcc, v7, v11
	v_cndmask_b32_e64 v7, 0, 1, vcc
	v_cmp_ne_u32_e32 vcc, v9, v13
	v_cndmask_b32_e64 v9, 0, 1, vcc
	v_or_b32_e32 v7, v15, v7
	v_cmp_gt_i32_e32 vcc, 1, v8
	v_cndmask_b32_e32 v7, v12, v7, vcc
	v_or_b32_e32 v9, v16, v9
	v_cmp_gt_i32_e32 vcc, 1, v10
	v_and_b32_e32 v11, 7, v7
	v_cndmask_b32_e32 v9, v14, v9, vcc
	v_cmp_lt_i32_e32 vcc, 5, v11
	v_cmp_eq_u32_e64 s[0:1], 3, v11
	v_lshrrev_b32_e32 v7, 2, v7
	v_and_b32_e32 v12, 7, v9
	s_or_b64 vcc, s[0:1], vcc
	v_cmp_lt_i32_e64 s[2:3], 5, v12
	v_cmp_eq_u32_e64 s[4:5], 3, v12
	v_addc_co_u32_e32 v7, vcc, 0, v7, vcc
	v_lshrrev_b32_e32 v9, 2, v9
	s_or_b64 vcc, s[4:5], s[2:3]
	v_addc_co_u32_e32 v9, vcc, 0, v9, vcc
	v_cmp_gt_i32_e32 vcc, 31, v8
	v_cndmask_b32_e32 v7, v0, v7, vcc
	v_cmp_gt_i32_e32 vcc, 31, v10
	v_lshl_or_b32 v1, v1, 9, v0
	v_cndmask_b32_e32 v9, v0, v9, vcc
	v_cmp_eq_u32_e32 vcc, s18, v8
	v_lshrrev_b32_e32 v2, 16, v2
	v_lshl_or_b32 v5, v5, 9, v0
	v_cndmask_b32_e32 v1, v7, v1, vcc
	v_cmp_eq_u32_e32 vcc, s18, v10
	v_lshrrev_b32_e32 v6, 16, v6
	v_cndmask_b32_e32 v5, v9, v5, vcc
	v_and_or_b32 v1, v2, s17, v1
	v_and_or_b32 v2, v6, s17, v5
	v_and_b32_e32 v1, 0xffff, v1
	v_lshl_or_b32 v1, v2, 16, v1
	global_store_dword v[3:4], v1, off
	global_load_dword v5, v29, s[6:7] offset:2156
	v_add_u32_e32 v9, 0x800, v29
	ds_read2_b32 v[1:2], v9 offset0:27 offset1:76
	v_add_co_u32_e32 v3, vcc, s8, v3
	s_waitcnt lgkmcnt(0)
	v_lshrrev_b32_e32 v6, 16, v1
	s_waitcnt vmcnt(0)
	v_mul_f16_sdwa v7, v6, v5 dst_sel:DWORD dst_unused:UNUSED_PAD src0_sel:DWORD src1_sel:WORD_1
	v_fma_f16 v7, v1, v5, v7
	v_mul_f16_sdwa v1, v1, v5 dst_sel:DWORD dst_unused:UNUSED_PAD src0_sel:DWORD src1_sel:WORD_1
	v_cvt_f32_f16_e32 v7, v7
	v_fma_f16 v1, v5, v6, -v1
	v_cvt_f32_f16_e32 v1, v1
	v_cvt_f64_f32_e32 v[5:6], v7
	v_cvt_f64_f32_e32 v[7:8], v1
	v_mov_b32_e32 v1, s9
	v_mul_f64 v[5:6], v[5:6], s[14:15]
	v_addc_co_u32_e32 v4, vcc, v4, v1, vcc
	v_mul_f64 v[7:8], v[7:8], s[14:15]
	v_and_or_b32 v1, v6, s16, v5
	v_cmp_ne_u32_e32 vcc, 0, v1
	v_lshrrev_b32_e32 v5, 8, v6
	v_and_or_b32 v7, v8, s16, v7
	v_bfe_u32 v10, v6, 20, 11
	v_cndmask_b32_e64 v1, 0, 1, vcc
	v_cmp_ne_u32_e32 vcc, 0, v7
	v_lshrrev_b32_e32 v11, 8, v8
	v_bfe_u32 v12, v8, 20, 11
	v_sub_u32_e32 v13, 0x3f1, v10
	v_cndmask_b32_e64 v7, 0, 1, vcc
	v_and_or_b32 v1, v5, s10, v1
	v_sub_u32_e32 v14, 0x3f1, v12
	v_med3_i32 v5, v13, 0, 13
	v_and_or_b32 v7, v11, s10, v7
	v_or_b32_e32 v13, 0x1000, v1
	v_add_u32_e32 v10, 0xfffffc10, v10
	v_med3_i32 v11, v14, 0, 13
	v_cmp_ne_u32_e32 vcc, 0, v1
	v_or_b32_e32 v15, 0x1000, v7
	v_lshrrev_b32_e32 v17, v5, v13
	v_add_u32_e32 v12, 0xfffffc10, v12
	v_lshl_or_b32 v14, v10, 12, v1
	v_cndmask_b32_e64 v1, 0, 1, vcc
	v_cmp_ne_u32_e32 vcc, 0, v7
	v_lshrrev_b32_e32 v18, v11, v15
	v_lshlrev_b32_e32 v5, v5, v17
	v_lshl_or_b32 v16, v12, 12, v7
	v_cndmask_b32_e64 v7, 0, 1, vcc
	v_lshlrev_b32_e32 v11, v11, v18
	v_cmp_ne_u32_e32 vcc, v5, v13
	v_cndmask_b32_e64 v5, 0, 1, vcc
	v_cmp_ne_u32_e32 vcc, v11, v15
	v_cndmask_b32_e64 v11, 0, 1, vcc
	v_or_b32_e32 v5, v17, v5
	v_cmp_gt_i32_e32 vcc, 1, v10
	v_cndmask_b32_e32 v5, v14, v5, vcc
	v_or_b32_e32 v11, v18, v11
	v_cmp_gt_i32_e32 vcc, 1, v12
	v_and_b32_e32 v13, 7, v5
	v_cndmask_b32_e32 v11, v16, v11, vcc
	v_cmp_lt_i32_e32 vcc, 5, v13
	v_cmp_eq_u32_e64 s[0:1], 3, v13
	v_lshrrev_b32_e32 v5, 2, v5
	v_and_b32_e32 v14, 7, v11
	s_or_b64 vcc, s[0:1], vcc
	v_cmp_lt_i32_e64 s[2:3], 5, v14
	v_cmp_eq_u32_e64 s[4:5], 3, v14
	v_addc_co_u32_e32 v5, vcc, 0, v5, vcc
	v_lshrrev_b32_e32 v11, 2, v11
	s_or_b64 vcc, s[4:5], s[2:3]
	v_addc_co_u32_e32 v11, vcc, 0, v11, vcc
	v_cmp_gt_i32_e32 vcc, 31, v10
	v_cndmask_b32_e32 v5, v0, v5, vcc
	v_cmp_gt_i32_e32 vcc, 31, v12
	v_lshl_or_b32 v1, v1, 9, v0
	v_cndmask_b32_e32 v11, v0, v11, vcc
	v_cmp_eq_u32_e32 vcc, s18, v10
	v_lshrrev_b32_e32 v6, 16, v6
	v_lshl_or_b32 v7, v7, 9, v0
	v_cndmask_b32_e32 v1, v5, v1, vcc
	v_cmp_eq_u32_e32 vcc, s18, v12
	v_lshrrev_b32_e32 v8, 16, v8
	v_cndmask_b32_e32 v5, v11, v7, vcc
	v_and_or_b32 v1, v6, s17, v1
	v_and_or_b32 v5, v8, s17, v5
	v_and_b32_e32 v1, 0xffff, v1
	v_lshl_or_b32 v1, v5, 16, v1
	global_store_dword v[3:4], v1, off
	global_load_dword v1, v29, s[6:7] offset:2352
	v_lshrrev_b32_e32 v5, 16, v2
	v_mov_b32_e32 v7, s9
	v_add_co_u32_e32 v3, vcc, s8, v3
	v_addc_co_u32_e32 v4, vcc, v4, v7, vcc
	s_waitcnt vmcnt(0)
	v_mul_f16_sdwa v6, v5, v1 dst_sel:DWORD dst_unused:UNUSED_PAD src0_sel:DWORD src1_sel:WORD_1
	v_fma_f16 v6, v2, v1, v6
	v_mul_f16_sdwa v2, v2, v1 dst_sel:DWORD dst_unused:UNUSED_PAD src0_sel:DWORD src1_sel:WORD_1
	v_cvt_f32_f16_e32 v6, v6
	v_fma_f16 v1, v1, v5, -v2
	v_cvt_f32_f16_e32 v5, v1
	v_cvt_f64_f32_e32 v[1:2], v6
	v_cvt_f64_f32_e32 v[5:6], v5
	v_mul_f64 v[1:2], v[1:2], s[14:15]
	v_mul_f64 v[5:6], v[5:6], s[14:15]
	v_and_or_b32 v1, v2, s16, v1
	v_cmp_ne_u32_e32 vcc, 0, v1
	v_and_or_b32 v5, v6, s16, v5
	v_lshrrev_b32_e32 v7, 8, v2
	v_bfe_u32 v8, v2, 20, 11
	v_cndmask_b32_e64 v1, 0, 1, vcc
	v_cmp_ne_u32_e32 vcc, 0, v5
	v_lshrrev_b32_e32 v10, 8, v6
	v_bfe_u32 v11, v6, 20, 11
	v_sub_u32_e32 v12, 0x3f1, v8
	v_cndmask_b32_e64 v5, 0, 1, vcc
	v_and_or_b32 v1, v7, s10, v1
	v_sub_u32_e32 v13, 0x3f1, v11
	v_med3_i32 v7, v12, 0, 13
	v_and_or_b32 v5, v10, s10, v5
	v_or_b32_e32 v12, 0x1000, v1
	v_add_u32_e32 v8, 0xfffffc10, v8
	v_med3_i32 v10, v13, 0, 13
	v_cmp_ne_u32_e32 vcc, 0, v1
	v_or_b32_e32 v14, 0x1000, v5
	v_lshrrev_b32_e32 v16, v7, v12
	v_add_u32_e32 v11, 0xfffffc10, v11
	v_lshl_or_b32 v13, v8, 12, v1
	v_cndmask_b32_e64 v1, 0, 1, vcc
	v_cmp_ne_u32_e32 vcc, 0, v5
	v_lshrrev_b32_e32 v17, v10, v14
	v_lshlrev_b32_e32 v7, v7, v16
	v_lshl_or_b32 v15, v11, 12, v5
	v_cndmask_b32_e64 v5, 0, 1, vcc
	v_lshlrev_b32_e32 v10, v10, v17
	v_cmp_ne_u32_e32 vcc, v7, v12
	v_cndmask_b32_e64 v7, 0, 1, vcc
	v_cmp_ne_u32_e32 vcc, v10, v14
	v_cndmask_b32_e64 v10, 0, 1, vcc
	v_or_b32_e32 v7, v16, v7
	v_cmp_gt_i32_e32 vcc, 1, v8
	v_cndmask_b32_e32 v7, v13, v7, vcc
	v_or_b32_e32 v10, v17, v10
	v_cmp_gt_i32_e32 vcc, 1, v11
	v_and_b32_e32 v12, 7, v7
	v_cndmask_b32_e32 v10, v15, v10, vcc
	v_cmp_lt_i32_e32 vcc, 5, v12
	v_cmp_eq_u32_e64 s[0:1], 3, v12
	v_lshrrev_b32_e32 v7, 2, v7
	v_and_b32_e32 v13, 7, v10
	s_or_b64 vcc, s[0:1], vcc
	v_cmp_lt_i32_e64 s[2:3], 5, v13
	v_cmp_eq_u32_e64 s[4:5], 3, v13
	v_addc_co_u32_e32 v7, vcc, 0, v7, vcc
	v_lshrrev_b32_e32 v10, 2, v10
	s_or_b64 vcc, s[4:5], s[2:3]
	v_addc_co_u32_e32 v10, vcc, 0, v10, vcc
	v_cmp_gt_i32_e32 vcc, 31, v8
	v_cndmask_b32_e32 v7, v0, v7, vcc
	v_cmp_gt_i32_e32 vcc, 31, v11
	v_lshl_or_b32 v1, v1, 9, v0
	v_cndmask_b32_e32 v10, v0, v10, vcc
	v_cmp_eq_u32_e32 vcc, s18, v8
	v_lshrrev_b32_e32 v2, 16, v2
	v_lshl_or_b32 v5, v5, 9, v0
	v_cndmask_b32_e32 v1, v7, v1, vcc
	v_cmp_eq_u32_e32 vcc, s18, v11
	v_lshrrev_b32_e32 v6, 16, v6
	v_cndmask_b32_e32 v5, v10, v5, vcc
	v_and_or_b32 v1, v2, s17, v1
	v_and_or_b32 v2, v6, s17, v5
	v_and_b32_e32 v1, 0xffff, v1
	v_lshl_or_b32 v1, v2, 16, v1
	global_store_dword v[3:4], v1, off
	global_load_dword v5, v29, s[6:7] offset:2548
	ds_read2_b32 v[1:2], v9 offset0:125 offset1:174
	v_add_co_u32_e32 v3, vcc, s8, v3
	s_waitcnt lgkmcnt(0)
	v_lshrrev_b32_e32 v6, 16, v1
	s_waitcnt vmcnt(0)
	v_mul_f16_sdwa v7, v6, v5 dst_sel:DWORD dst_unused:UNUSED_PAD src0_sel:DWORD src1_sel:WORD_1
	v_fma_f16 v7, v1, v5, v7
	v_mul_f16_sdwa v1, v1, v5 dst_sel:DWORD dst_unused:UNUSED_PAD src0_sel:DWORD src1_sel:WORD_1
	v_cvt_f32_f16_e32 v7, v7
	v_fma_f16 v1, v5, v6, -v1
	v_cvt_f32_f16_e32 v1, v1
	v_cvt_f64_f32_e32 v[5:6], v7
	v_cvt_f64_f32_e32 v[7:8], v1
	v_mov_b32_e32 v1, s9
	v_mul_f64 v[5:6], v[5:6], s[14:15]
	v_addc_co_u32_e32 v4, vcc, v4, v1, vcc
	v_mul_f64 v[7:8], v[7:8], s[14:15]
	v_and_or_b32 v1, v6, s16, v5
	v_cmp_ne_u32_e32 vcc, 0, v1
	v_lshrrev_b32_e32 v5, 8, v6
	v_and_or_b32 v7, v8, s16, v7
	v_bfe_u32 v9, v6, 20, 11
	v_cndmask_b32_e64 v1, 0, 1, vcc
	v_cmp_ne_u32_e32 vcc, 0, v7
	v_lshrrev_b32_e32 v10, 8, v8
	v_bfe_u32 v11, v8, 20, 11
	v_sub_u32_e32 v12, 0x3f1, v9
	v_cndmask_b32_e64 v7, 0, 1, vcc
	v_and_or_b32 v1, v5, s10, v1
	v_sub_u32_e32 v13, 0x3f1, v11
	v_med3_i32 v5, v12, 0, 13
	v_and_or_b32 v7, v10, s10, v7
	v_or_b32_e32 v12, 0x1000, v1
	v_add_u32_e32 v9, 0xfffffc10, v9
	v_med3_i32 v10, v13, 0, 13
	v_cmp_ne_u32_e32 vcc, 0, v1
	v_or_b32_e32 v14, 0x1000, v7
	v_lshrrev_b32_e32 v16, v5, v12
	v_add_u32_e32 v11, 0xfffffc10, v11
	v_lshl_or_b32 v13, v9, 12, v1
	v_cndmask_b32_e64 v1, 0, 1, vcc
	v_cmp_ne_u32_e32 vcc, 0, v7
	v_lshrrev_b32_e32 v17, v10, v14
	v_lshlrev_b32_e32 v5, v5, v16
	v_lshl_or_b32 v15, v11, 12, v7
	v_cndmask_b32_e64 v7, 0, 1, vcc
	v_lshlrev_b32_e32 v10, v10, v17
	v_cmp_ne_u32_e32 vcc, v5, v12
	v_cndmask_b32_e64 v5, 0, 1, vcc
	v_cmp_ne_u32_e32 vcc, v10, v14
	v_cndmask_b32_e64 v10, 0, 1, vcc
	v_or_b32_e32 v5, v16, v5
	v_cmp_gt_i32_e32 vcc, 1, v9
	v_cndmask_b32_e32 v5, v13, v5, vcc
	v_or_b32_e32 v10, v17, v10
	v_cmp_gt_i32_e32 vcc, 1, v11
	v_and_b32_e32 v12, 7, v5
	v_cndmask_b32_e32 v10, v15, v10, vcc
	v_cmp_lt_i32_e32 vcc, 5, v12
	v_cmp_eq_u32_e64 s[0:1], 3, v12
	v_lshrrev_b32_e32 v5, 2, v5
	v_and_b32_e32 v13, 7, v10
	s_or_b64 vcc, s[0:1], vcc
	v_cmp_lt_i32_e64 s[2:3], 5, v13
	v_cmp_eq_u32_e64 s[4:5], 3, v13
	v_addc_co_u32_e32 v5, vcc, 0, v5, vcc
	v_lshrrev_b32_e32 v10, 2, v10
	s_or_b64 vcc, s[4:5], s[2:3]
	v_addc_co_u32_e32 v10, vcc, 0, v10, vcc
	v_cmp_gt_i32_e32 vcc, 31, v9
	v_cndmask_b32_e32 v5, v0, v5, vcc
	v_cmp_gt_i32_e32 vcc, 31, v11
	v_lshl_or_b32 v1, v1, 9, v0
	v_cndmask_b32_e32 v10, v0, v10, vcc
	v_cmp_eq_u32_e32 vcc, s18, v9
	v_lshrrev_b32_e32 v6, 16, v6
	v_lshl_or_b32 v7, v7, 9, v0
	v_cndmask_b32_e32 v1, v5, v1, vcc
	v_cmp_eq_u32_e32 vcc, s18, v11
	v_lshrrev_b32_e32 v8, 16, v8
	v_cndmask_b32_e32 v5, v10, v7, vcc
	v_and_or_b32 v1, v6, s17, v1
	v_and_or_b32 v5, v8, s17, v5
	v_and_b32_e32 v1, 0xffff, v1
	v_lshl_or_b32 v1, v5, 16, v1
	global_store_dword v[3:4], v1, off
	global_load_dword v1, v29, s[6:7] offset:2744
	v_lshrrev_b32_e32 v5, 16, v2
	v_mov_b32_e32 v7, s9
	v_add_co_u32_e32 v3, vcc, s8, v3
	v_addc_co_u32_e32 v4, vcc, v4, v7, vcc
	s_waitcnt vmcnt(0)
	v_mul_f16_sdwa v6, v5, v1 dst_sel:DWORD dst_unused:UNUSED_PAD src0_sel:DWORD src1_sel:WORD_1
	v_fma_f16 v6, v2, v1, v6
	v_mul_f16_sdwa v2, v2, v1 dst_sel:DWORD dst_unused:UNUSED_PAD src0_sel:DWORD src1_sel:WORD_1
	v_cvt_f32_f16_e32 v6, v6
	v_fma_f16 v1, v1, v5, -v2
	v_cvt_f32_f16_e32 v5, v1
	v_cvt_f64_f32_e32 v[1:2], v6
	v_cvt_f64_f32_e32 v[5:6], v5
	v_mul_f64 v[1:2], v[1:2], s[14:15]
	v_mul_f64 v[5:6], v[5:6], s[14:15]
	v_and_or_b32 v1, v2, s16, v1
	v_cmp_ne_u32_e32 vcc, 0, v1
	v_and_or_b32 v5, v6, s16, v5
	v_lshrrev_b32_e32 v7, 8, v2
	v_bfe_u32 v8, v2, 20, 11
	v_cndmask_b32_e64 v1, 0, 1, vcc
	v_cmp_ne_u32_e32 vcc, 0, v5
	v_lshrrev_b32_e32 v9, 8, v6
	v_bfe_u32 v10, v6, 20, 11
	v_sub_u32_e32 v11, 0x3f1, v8
	v_cndmask_b32_e64 v5, 0, 1, vcc
	v_and_or_b32 v1, v7, s10, v1
	v_sub_u32_e32 v12, 0x3f1, v10
	v_med3_i32 v7, v11, 0, 13
	v_and_or_b32 v5, v9, s10, v5
	v_or_b32_e32 v11, 0x1000, v1
	v_add_u32_e32 v8, 0xfffffc10, v8
	v_med3_i32 v9, v12, 0, 13
	v_cmp_ne_u32_e32 vcc, 0, v1
	v_or_b32_e32 v13, 0x1000, v5
	v_lshrrev_b32_e32 v15, v7, v11
	v_add_u32_e32 v10, 0xfffffc10, v10
	v_lshl_or_b32 v12, v8, 12, v1
	v_cndmask_b32_e64 v1, 0, 1, vcc
	v_cmp_ne_u32_e32 vcc, 0, v5
	v_lshrrev_b32_e32 v16, v9, v13
	v_lshlrev_b32_e32 v7, v7, v15
	v_lshl_or_b32 v14, v10, 12, v5
	v_cndmask_b32_e64 v5, 0, 1, vcc
	v_lshlrev_b32_e32 v9, v9, v16
	v_cmp_ne_u32_e32 vcc, v7, v11
	v_cndmask_b32_e64 v7, 0, 1, vcc
	v_cmp_ne_u32_e32 vcc, v9, v13
	v_cndmask_b32_e64 v9, 0, 1, vcc
	v_or_b32_e32 v7, v15, v7
	v_cmp_gt_i32_e32 vcc, 1, v8
	v_cndmask_b32_e32 v7, v12, v7, vcc
	v_or_b32_e32 v9, v16, v9
	v_cmp_gt_i32_e32 vcc, 1, v10
	v_and_b32_e32 v11, 7, v7
	v_cndmask_b32_e32 v9, v14, v9, vcc
	v_cmp_lt_i32_e32 vcc, 5, v11
	v_cmp_eq_u32_e64 s[0:1], 3, v11
	v_lshrrev_b32_e32 v7, 2, v7
	v_and_b32_e32 v12, 7, v9
	s_or_b64 vcc, s[0:1], vcc
	v_cmp_lt_i32_e64 s[2:3], 5, v12
	v_cmp_eq_u32_e64 s[4:5], 3, v12
	v_addc_co_u32_e32 v7, vcc, 0, v7, vcc
	v_lshrrev_b32_e32 v9, 2, v9
	s_or_b64 vcc, s[4:5], s[2:3]
	v_addc_co_u32_e32 v9, vcc, 0, v9, vcc
	v_cmp_gt_i32_e32 vcc, 31, v8
	v_cndmask_b32_e32 v7, v0, v7, vcc
	v_cmp_gt_i32_e32 vcc, 31, v10
	v_lshl_or_b32 v1, v1, 9, v0
	v_cndmask_b32_e32 v9, v0, v9, vcc
	v_cmp_eq_u32_e32 vcc, s18, v8
	v_lshrrev_b32_e32 v2, 16, v2
	v_lshl_or_b32 v5, v5, 9, v0
	v_cndmask_b32_e32 v1, v7, v1, vcc
	v_cmp_eq_u32_e32 vcc, s18, v10
	v_lshrrev_b32_e32 v6, 16, v6
	v_cndmask_b32_e32 v5, v9, v5, vcc
	v_and_or_b32 v1, v2, s17, v1
	v_and_or_b32 v2, v6, s17, v5
	v_and_b32_e32 v1, 0xffff, v1
	v_lshl_or_b32 v1, v2, 16, v1
	global_store_dword v[3:4], v1, off
	global_load_dword v5, v29, s[6:7] offset:2940
	v_add_u32_e32 v1, 0xa00, v29
	ds_read2_b32 v[1:2], v1 offset0:95 offset1:144
	v_add_co_u32_e32 v3, vcc, s8, v3
	s_waitcnt lgkmcnt(0)
	v_lshrrev_b32_e32 v6, 16, v1
	s_waitcnt vmcnt(0)
	v_mul_f16_sdwa v7, v6, v5 dst_sel:DWORD dst_unused:UNUSED_PAD src0_sel:DWORD src1_sel:WORD_1
	v_fma_f16 v7, v1, v5, v7
	v_mul_f16_sdwa v1, v1, v5 dst_sel:DWORD dst_unused:UNUSED_PAD src0_sel:DWORD src1_sel:WORD_1
	v_cvt_f32_f16_e32 v7, v7
	v_fma_f16 v1, v5, v6, -v1
	v_cvt_f32_f16_e32 v1, v1
	v_cvt_f64_f32_e32 v[5:6], v7
	v_cvt_f64_f32_e32 v[7:8], v1
	v_mov_b32_e32 v1, s9
	v_mul_f64 v[5:6], v[5:6], s[14:15]
	v_addc_co_u32_e32 v4, vcc, v4, v1, vcc
	v_mul_f64 v[7:8], v[7:8], s[14:15]
	v_and_or_b32 v1, v6, s16, v5
	v_cmp_ne_u32_e32 vcc, 0, v1
	v_lshrrev_b32_e32 v5, 8, v6
	v_and_or_b32 v7, v8, s16, v7
	v_bfe_u32 v9, v6, 20, 11
	v_cndmask_b32_e64 v1, 0, 1, vcc
	v_cmp_ne_u32_e32 vcc, 0, v7
	v_lshrrev_b32_e32 v10, 8, v8
	v_bfe_u32 v11, v8, 20, 11
	v_sub_u32_e32 v12, 0x3f1, v9
	v_cndmask_b32_e64 v7, 0, 1, vcc
	v_and_or_b32 v1, v5, s10, v1
	v_sub_u32_e32 v13, 0x3f1, v11
	v_med3_i32 v5, v12, 0, 13
	v_and_or_b32 v7, v10, s10, v7
	v_or_b32_e32 v12, 0x1000, v1
	v_add_u32_e32 v9, 0xfffffc10, v9
	v_med3_i32 v10, v13, 0, 13
	v_cmp_ne_u32_e32 vcc, 0, v1
	v_or_b32_e32 v14, 0x1000, v7
	v_lshrrev_b32_e32 v16, v5, v12
	v_add_u32_e32 v11, 0xfffffc10, v11
	v_lshl_or_b32 v13, v9, 12, v1
	v_cndmask_b32_e64 v1, 0, 1, vcc
	v_cmp_ne_u32_e32 vcc, 0, v7
	v_lshrrev_b32_e32 v17, v10, v14
	v_lshlrev_b32_e32 v5, v5, v16
	v_lshl_or_b32 v15, v11, 12, v7
	v_cndmask_b32_e64 v7, 0, 1, vcc
	v_lshlrev_b32_e32 v10, v10, v17
	v_cmp_ne_u32_e32 vcc, v5, v12
	v_cndmask_b32_e64 v5, 0, 1, vcc
	v_cmp_ne_u32_e32 vcc, v10, v14
	v_cndmask_b32_e64 v10, 0, 1, vcc
	v_or_b32_e32 v5, v16, v5
	v_cmp_gt_i32_e32 vcc, 1, v9
	v_cndmask_b32_e32 v5, v13, v5, vcc
	v_or_b32_e32 v10, v17, v10
	v_cmp_gt_i32_e32 vcc, 1, v11
	v_and_b32_e32 v12, 7, v5
	v_cndmask_b32_e32 v10, v15, v10, vcc
	v_cmp_lt_i32_e32 vcc, 5, v12
	v_cmp_eq_u32_e64 s[0:1], 3, v12
	v_lshrrev_b32_e32 v5, 2, v5
	v_and_b32_e32 v13, 7, v10
	s_or_b64 vcc, s[0:1], vcc
	v_cmp_lt_i32_e64 s[2:3], 5, v13
	v_cmp_eq_u32_e64 s[4:5], 3, v13
	v_addc_co_u32_e32 v5, vcc, 0, v5, vcc
	v_lshrrev_b32_e32 v10, 2, v10
	s_or_b64 vcc, s[4:5], s[2:3]
	v_addc_co_u32_e32 v10, vcc, 0, v10, vcc
	v_cmp_gt_i32_e32 vcc, 31, v9
	v_cndmask_b32_e32 v5, v0, v5, vcc
	v_cmp_gt_i32_e32 vcc, 31, v11
	v_lshl_or_b32 v1, v1, 9, v0
	v_cndmask_b32_e32 v10, v0, v10, vcc
	v_cmp_eq_u32_e32 vcc, s18, v9
	v_lshrrev_b32_e32 v6, 16, v6
	v_lshl_or_b32 v7, v7, 9, v0
	v_cndmask_b32_e32 v1, v5, v1, vcc
	v_cmp_eq_u32_e32 vcc, s18, v11
	v_lshrrev_b32_e32 v8, 16, v8
	v_cndmask_b32_e32 v5, v10, v7, vcc
	v_and_or_b32 v1, v6, s17, v1
	v_and_or_b32 v5, v8, s17, v5
	v_and_b32_e32 v1, 0xffff, v1
	v_lshl_or_b32 v1, v5, 16, v1
	global_store_dword v[3:4], v1, off
	global_load_dword v1, v29, s[6:7] offset:3136
	v_lshrrev_b32_e32 v5, 16, v2
	v_mov_b32_e32 v7, s9
	s_waitcnt vmcnt(0)
	v_mul_f16_sdwa v6, v5, v1 dst_sel:DWORD dst_unused:UNUSED_PAD src0_sel:DWORD src1_sel:WORD_1
	v_fma_f16 v6, v2, v1, v6
	v_mul_f16_sdwa v2, v2, v1 dst_sel:DWORD dst_unused:UNUSED_PAD src0_sel:DWORD src1_sel:WORD_1
	v_cvt_f32_f16_e32 v6, v6
	v_fma_f16 v1, v1, v5, -v2
	v_cvt_f32_f16_e32 v5, v1
	v_cvt_f64_f32_e32 v[1:2], v6
	v_cvt_f64_f32_e32 v[5:6], v5
	v_mul_f64 v[1:2], v[1:2], s[14:15]
	v_mul_f64 v[5:6], v[5:6], s[14:15]
	v_and_or_b32 v1, v2, s16, v1
	v_cmp_ne_u32_e32 vcc, 0, v1
	v_and_or_b32 v5, v6, s16, v5
	v_lshrrev_b32_e32 v8, 8, v2
	v_bfe_u32 v9, v2, 20, 11
	v_cndmask_b32_e64 v1, 0, 1, vcc
	v_cmp_ne_u32_e32 vcc, 0, v5
	v_lshrrev_b32_e32 v10, 8, v6
	v_bfe_u32 v11, v6, 20, 11
	v_sub_u32_e32 v12, 0x3f1, v9
	v_cndmask_b32_e64 v5, 0, 1, vcc
	v_and_or_b32 v1, v8, s10, v1
	v_sub_u32_e32 v13, 0x3f1, v11
	v_med3_i32 v8, v12, 0, 13
	v_and_or_b32 v5, v10, s10, v5
	v_or_b32_e32 v12, 0x1000, v1
	v_add_u32_e32 v9, 0xfffffc10, v9
	v_med3_i32 v10, v13, 0, 13
	v_cmp_ne_u32_e32 vcc, 0, v1
	v_or_b32_e32 v14, 0x1000, v5
	v_lshrrev_b32_e32 v16, v8, v12
	v_add_u32_e32 v11, 0xfffffc10, v11
	v_lshl_or_b32 v13, v9, 12, v1
	v_cndmask_b32_e64 v1, 0, 1, vcc
	v_cmp_ne_u32_e32 vcc, 0, v5
	v_lshrrev_b32_e32 v17, v10, v14
	v_lshlrev_b32_e32 v8, v8, v16
	v_lshl_or_b32 v15, v11, 12, v5
	v_cndmask_b32_e64 v5, 0, 1, vcc
	v_lshlrev_b32_e32 v10, v10, v17
	v_cmp_ne_u32_e32 vcc, v8, v12
	v_cndmask_b32_e64 v8, 0, 1, vcc
	v_cmp_ne_u32_e32 vcc, v10, v14
	v_cndmask_b32_e64 v10, 0, 1, vcc
	v_or_b32_e32 v8, v16, v8
	v_cmp_gt_i32_e32 vcc, 1, v9
	v_cndmask_b32_e32 v8, v13, v8, vcc
	v_or_b32_e32 v10, v17, v10
	v_cmp_gt_i32_e32 vcc, 1, v11
	v_and_b32_e32 v12, 7, v8
	v_cndmask_b32_e32 v10, v15, v10, vcc
	v_cmp_lt_i32_e32 vcc, 5, v12
	v_cmp_eq_u32_e64 s[0:1], 3, v12
	v_lshrrev_b32_e32 v8, 2, v8
	v_and_b32_e32 v13, 7, v10
	s_or_b64 vcc, s[0:1], vcc
	v_cmp_lt_i32_e64 s[2:3], 5, v13
	v_cmp_eq_u32_e64 s[4:5], 3, v13
	v_addc_co_u32_e32 v8, vcc, 0, v8, vcc
	v_lshrrev_b32_e32 v10, 2, v10
	s_or_b64 vcc, s[4:5], s[2:3]
	v_addc_co_u32_e32 v10, vcc, 0, v10, vcc
	v_cmp_gt_i32_e32 vcc, 31, v9
	v_cndmask_b32_e32 v8, v0, v8, vcc
	v_cmp_gt_i32_e32 vcc, 31, v11
	v_lshl_or_b32 v1, v1, 9, v0
	v_lshl_or_b32 v5, v5, 9, v0
	v_cndmask_b32_e32 v0, v0, v10, vcc
	v_cmp_eq_u32_e32 vcc, s18, v9
	v_lshrrev_b32_e32 v2, 16, v2
	v_cndmask_b32_e32 v1, v8, v1, vcc
	v_cmp_eq_u32_e32 vcc, s18, v11
	v_lshrrev_b32_e32 v6, 16, v6
	v_cndmask_b32_e32 v0, v0, v5, vcc
	v_and_or_b32 v1, v2, s17, v1
	v_and_or_b32 v0, v6, s17, v0
	v_and_b32_e32 v1, 0xffff, v1
	v_lshl_or_b32 v2, v0, 16, v1
	v_add_co_u32_e32 v0, vcc, s8, v3
	v_addc_co_u32_e32 v1, vcc, v4, v7, vcc
	global_store_dword v[0:1], v2, off
.LBB0_15:
	s_endpgm
	.section	.rodata,"a",@progbits
	.p2align	6, 0x0
	.amdhsa_kernel bluestein_single_fwd_len833_dim1_half_op_CI_CI
		.amdhsa_group_segment_fixed_size 3332
		.amdhsa_private_segment_fixed_size 0
		.amdhsa_kernarg_size 104
		.amdhsa_user_sgpr_count 6
		.amdhsa_user_sgpr_private_segment_buffer 1
		.amdhsa_user_sgpr_dispatch_ptr 0
		.amdhsa_user_sgpr_queue_ptr 0
		.amdhsa_user_sgpr_kernarg_segment_ptr 1
		.amdhsa_user_sgpr_dispatch_id 0
		.amdhsa_user_sgpr_flat_scratch_init 0
		.amdhsa_user_sgpr_private_segment_size 0
		.amdhsa_uses_dynamic_stack 0
		.amdhsa_system_sgpr_private_segment_wavefront_offset 0
		.amdhsa_system_sgpr_workgroup_id_x 1
		.amdhsa_system_sgpr_workgroup_id_y 0
		.amdhsa_system_sgpr_workgroup_id_z 0
		.amdhsa_system_sgpr_workgroup_info 0
		.amdhsa_system_vgpr_workitem_id 0
		.amdhsa_next_free_vgpr 249
		.amdhsa_next_free_sgpr 35
		.amdhsa_reserve_vcc 1
		.amdhsa_reserve_flat_scratch 0
		.amdhsa_float_round_mode_32 0
		.amdhsa_float_round_mode_16_64 0
		.amdhsa_float_denorm_mode_32 3
		.amdhsa_float_denorm_mode_16_64 3
		.amdhsa_dx10_clamp 1
		.amdhsa_ieee_mode 1
		.amdhsa_fp16_overflow 0
		.amdhsa_exception_fp_ieee_invalid_op 0
		.amdhsa_exception_fp_denorm_src 0
		.amdhsa_exception_fp_ieee_div_zero 0
		.amdhsa_exception_fp_ieee_overflow 0
		.amdhsa_exception_fp_ieee_underflow 0
		.amdhsa_exception_fp_ieee_inexact 0
		.amdhsa_exception_int_div_zero 0
	.end_amdhsa_kernel
	.text
.Lfunc_end0:
	.size	bluestein_single_fwd_len833_dim1_half_op_CI_CI, .Lfunc_end0-bluestein_single_fwd_len833_dim1_half_op_CI_CI
                                        ; -- End function
	.section	.AMDGPU.csdata,"",@progbits
; Kernel info:
; codeLenInByte = 25456
; NumSgprs: 39
; NumVgprs: 249
; ScratchSize: 0
; MemoryBound: 0
; FloatMode: 240
; IeeeMode: 1
; LDSByteSize: 3332 bytes/workgroup (compile time only)
; SGPRBlocks: 4
; VGPRBlocks: 62
; NumSGPRsForWavesPerEU: 39
; NumVGPRsForWavesPerEU: 249
; Occupancy: 1
; WaveLimiterHint : 1
; COMPUTE_PGM_RSRC2:SCRATCH_EN: 0
; COMPUTE_PGM_RSRC2:USER_SGPR: 6
; COMPUTE_PGM_RSRC2:TRAP_HANDLER: 0
; COMPUTE_PGM_RSRC2:TGID_X_EN: 1
; COMPUTE_PGM_RSRC2:TGID_Y_EN: 0
; COMPUTE_PGM_RSRC2:TGID_Z_EN: 0
; COMPUTE_PGM_RSRC2:TIDIG_COMP_CNT: 0
	.type	__hip_cuid_6df721b49187dd37,@object ; @__hip_cuid_6df721b49187dd37
	.section	.bss,"aw",@nobits
	.globl	__hip_cuid_6df721b49187dd37
__hip_cuid_6df721b49187dd37:
	.byte	0                               ; 0x0
	.size	__hip_cuid_6df721b49187dd37, 1

	.ident	"AMD clang version 19.0.0git (https://github.com/RadeonOpenCompute/llvm-project roc-6.4.0 25133 c7fe45cf4b819c5991fe208aaa96edf142730f1d)"
	.section	".note.GNU-stack","",@progbits
	.addrsig
	.addrsig_sym __hip_cuid_6df721b49187dd37
	.amdgpu_metadata
---
amdhsa.kernels:
  - .args:
      - .actual_access:  read_only
        .address_space:  global
        .offset:         0
        .size:           8
        .value_kind:     global_buffer
      - .actual_access:  read_only
        .address_space:  global
        .offset:         8
        .size:           8
        .value_kind:     global_buffer
      - .actual_access:  read_only
        .address_space:  global
        .offset:         16
        .size:           8
        .value_kind:     global_buffer
      - .actual_access:  read_only
        .address_space:  global
        .offset:         24
        .size:           8
        .value_kind:     global_buffer
      - .actual_access:  read_only
        .address_space:  global
        .offset:         32
        .size:           8
        .value_kind:     global_buffer
      - .offset:         40
        .size:           8
        .value_kind:     by_value
      - .address_space:  global
        .offset:         48
        .size:           8
        .value_kind:     global_buffer
      - .address_space:  global
        .offset:         56
        .size:           8
        .value_kind:     global_buffer
      - .address_space:  global
        .offset:         64
        .size:           8
        .value_kind:     global_buffer
      - .address_space:  global
        .offset:         72
        .size:           8
        .value_kind:     global_buffer
      - .offset:         80
        .size:           4
        .value_kind:     by_value
      - .address_space:  global
        .offset:         88
        .size:           8
        .value_kind:     global_buffer
      - .address_space:  global
        .offset:         96
        .size:           8
        .value_kind:     global_buffer
    .group_segment_fixed_size: 3332
    .kernarg_segment_align: 8
    .kernarg_segment_size: 104
    .language:       OpenCL C
    .language_version:
      - 2
      - 0
    .max_flat_workgroup_size: 119
    .name:           bluestein_single_fwd_len833_dim1_half_op_CI_CI
    .private_segment_fixed_size: 0
    .sgpr_count:     39
    .sgpr_spill_count: 0
    .symbol:         bluestein_single_fwd_len833_dim1_half_op_CI_CI.kd
    .uniform_work_group_size: 1
    .uses_dynamic_stack: false
    .vgpr_count:     249
    .vgpr_spill_count: 0
    .wavefront_size: 64
amdhsa.target:   amdgcn-amd-amdhsa--gfx906
amdhsa.version:
  - 1
  - 2
...

	.end_amdgpu_metadata
